;; amdgpu-corpus repo=ROCm/rocFFT kind=compiled arch=gfx906 opt=O3
	.text
	.amdgcn_target "amdgcn-amd-amdhsa--gfx906"
	.amdhsa_code_object_version 6
	.protected	bluestein_single_fwd_len325_dim1_sp_op_CI_CI ; -- Begin function bluestein_single_fwd_len325_dim1_sp_op_CI_CI
	.globl	bluestein_single_fwd_len325_dim1_sp_op_CI_CI
	.p2align	8
	.type	bluestein_single_fwd_len325_dim1_sp_op_CI_CI,@function
bluestein_single_fwd_len325_dim1_sp_op_CI_CI: ; @bluestein_single_fwd_len325_dim1_sp_op_CI_CI
; %bb.0:
	s_load_dwordx4 s[8:11], s[4:5], 0x28
	v_mul_u32_u24_e32 v1, 0x13b2, v0
	v_lshrrev_b32_e32 v4, 16, v1
	v_lshl_add_u32 v134, s6, 2, v4
	v_mov_b32_e32 v135, 0
	s_waitcnt lgkmcnt(0)
	v_cmp_gt_u64_e32 vcc, s[8:9], v[134:135]
	s_and_saveexec_b64 s[0:1], vcc
	s_cbranch_execz .LBB0_15
; %bb.1:
	s_load_dwordx4 s[0:3], s[4:5], 0x18
	v_mul_lo_u16_e32 v1, 13, v4
	v_sub_u16_e32 v153, v0, v1
	v_lshlrev_b32_e32 v98, 3, v153
	v_and_b32_e32 v4, 3, v4
	s_waitcnt lgkmcnt(0)
	s_load_dwordx4 s[12:15], s[0:1], 0x0
	v_mul_u32_u24_e32 v4, 0x145, v4
	v_lshlrev_b32_e32 v155, 3, v4
	v_add_u32_e32 v154, v155, v98
	s_waitcnt lgkmcnt(0)
	v_mad_u64_u32 v[5:6], s[0:1], s12, v153, 0
	v_mad_u64_u32 v[0:1], s[0:1], s14, v134, 0
	v_mov_b32_e32 v2, v6
	v_mad_u64_u32 v[6:7], s[0:1], s15, v134, v[1:2]
	v_mad_u64_u32 v[2:3], s[0:1], s13, v153, v[2:3]
	v_mov_b32_e32 v1, v6
	v_lshlrev_b64 v[0:1], 3, v[0:1]
	v_mov_b32_e32 v3, s11
	v_mov_b32_e32 v6, v2
	v_add_co_u32_e32 v2, vcc, s10, v0
	v_addc_co_u32_e32 v3, vcc, v3, v1, vcc
	v_lshlrev_b64 v[0:1], 3, v[5:6]
	s_mul_i32 s0, s13, 25
	s_mul_hi_u32 s1, s12, 25
	v_add_co_u32_e32 v0, vcc, v2, v0
	s_add_i32 s1, s1, s0
	s_mul_i32 s0, s12, 25
	v_addc_co_u32_e32 v1, vcc, v3, v1, vcc
	s_lshl_b64 s[16:17], s[0:1], 3
	v_mov_b32_e32 v29, s17
	v_add_co_u32_e32 v5, vcc, s16, v0
	v_addc_co_u32_e32 v6, vcc, v1, v29, vcc
	v_add_co_u32_e32 v7, vcc, s16, v5
	v_addc_co_u32_e32 v8, vcc, v6, v29, vcc
	s_load_dwordx2 s[14:15], s[4:5], 0x0
	v_add_co_u32_e32 v9, vcc, s16, v7
	v_addc_co_u32_e32 v10, vcc, v8, v29, vcc
	global_load_dwordx2 v[11:12], v[0:1], off
	global_load_dwordx2 v[13:14], v[5:6], off
	;; [unrolled: 1-line block ×4, first 2 shown]
	s_waitcnt lgkmcnt(0)
	global_load_dwordx2 v[147:148], v98, s[14:15]
	global_load_dwordx2 v[145:146], v98, s[14:15] offset:200
	global_load_dwordx2 v[143:144], v98, s[14:15] offset:400
	;; [unrolled: 1-line block ×3, first 2 shown]
	v_add_co_u32_e32 v0, vcc, s16, v9
	v_addc_co_u32_e32 v1, vcc, v10, v29, vcc
	global_load_dwordx2 v[5:6], v[0:1], off
	global_load_dwordx2 v[137:138], v98, s[14:15] offset:800
	v_add_co_u32_e32 v0, vcc, s16, v0
	v_addc_co_u32_e32 v1, vcc, v1, v29, vcc
	global_load_dwordx2 v[7:8], v[0:1], off
	v_add_co_u32_e32 v0, vcc, s16, v0
	v_addc_co_u32_e32 v1, vcc, v1, v29, vcc
	global_load_dwordx2 v[9:10], v[0:1], off
	v_add_co_u32_e32 v0, vcc, s16, v0
	v_addc_co_u32_e32 v1, vcc, v1, v29, vcc
	global_load_dwordx2 v[141:142], v98, s[14:15] offset:1000
	global_load_dwordx2 v[19:20], v[0:1], off
	global_load_dwordx2 v[135:136], v98, s[14:15] offset:1200
	global_load_dwordx2 v[130:131], v98, s[14:15] offset:1400
	v_add_co_u32_e32 v0, vcc, s16, v0
	v_addc_co_u32_e32 v1, vcc, v1, v29, vcc
	global_load_dwordx2 v[21:22], v[0:1], off
	v_add_co_u32_e32 v0, vcc, s16, v0
	v_addc_co_u32_e32 v1, vcc, v1, v29, vcc
	global_load_dwordx2 v[23:24], v[0:1], off
	global_load_dwordx2 v[132:133], v98, s[14:15] offset:1600
	global_load_dwordx2 v[128:129], v98, s[14:15] offset:1800
	v_add_co_u32_e32 v0, vcc, s16, v0
	v_addc_co_u32_e32 v1, vcc, v1, v29, vcc
	global_load_dwordx2 v[25:26], v[0:1], off
	global_load_dwordx2 v[126:127], v98, s[14:15] offset:2000
	v_add_co_u32_e32 v0, vcc, s16, v0
	v_addc_co_u32_e32 v1, vcc, v1, v29, vcc
	global_load_dwordx2 v[27:28], v[0:1], off
	;; [unrolled: 4-line block ×3, first 2 shown]
	global_load_dwordx2 v[122:123], v98, s[14:15] offset:2400
	v_mov_b32_e32 v31, s15
	v_add_co_u32_e32 v120, vcc, s14, v98
	v_addc_co_u32_e32 v121, vcc, 0, v31, vcc
	s_load_dwordx2 s[6:7], s[4:5], 0x38
	s_load_dwordx4 s[8:11], s[2:3], 0x0
	v_cmp_gt_u16_e32 vcc, 12, v153
	s_waitcnt vmcnt(21)
	v_mul_f32_e32 v31, v12, v148
	v_mul_f32_e32 v4, v11, v148
	v_fmac_f32_e32 v31, v11, v147
	v_fma_f32 v32, v12, v147, -v4
	s_waitcnt vmcnt(20)
	v_mul_f32_e32 v11, v14, v146
	v_mul_f32_e32 v4, v13, v146
	v_fmac_f32_e32 v11, v13, v145
	v_fma_f32 v12, v14, v145, -v4
	s_waitcnt vmcnt(19)
	v_mul_f32_e32 v4, v15, v144
	ds_write2_b64 v154, v[31:32], v[11:12] offset1:25
	v_fma_f32 v12, v16, v143, -v4
	s_waitcnt vmcnt(18)
	v_mul_f32_e32 v4, v17, v140
	v_fma_f32 v14, v18, v139, -v4
	s_waitcnt vmcnt(16)
	v_mul_f32_e32 v4, v6, v138
	v_fmac_f32_e32 v4, v5, v137
	v_mul_f32_e32 v5, v5, v138
	v_fma_f32 v5, v6, v137, -v5
	v_mul_f32_e32 v11, v16, v144
	v_mul_f32_e32 v13, v18, v140
	v_fmac_f32_e32 v11, v15, v143
	s_waitcnt vmcnt(13)
	v_mul_f32_e32 v6, v8, v142
	v_fmac_f32_e32 v6, v7, v141
	v_mul_f32_e32 v7, v7, v142
	v_fma_f32 v7, v8, v141, -v7
	ds_write2_b64 v154, v[4:5], v[6:7] offset0:100 offset1:125
	s_waitcnt vmcnt(11)
	v_mul_f32_e32 v4, v10, v136
	v_mul_f32_e32 v5, v9, v136
	s_waitcnt vmcnt(10)
	v_mul_f32_e32 v6, v20, v131
	v_mul_f32_e32 v7, v19, v131
	v_fmac_f32_e32 v4, v9, v135
	v_fma_f32 v5, v10, v135, -v5
	v_fmac_f32_e32 v6, v19, v130
	v_fma_f32 v7, v20, v130, -v7
	ds_write2_b64 v154, v[4:5], v[6:7] offset0:150 offset1:175
	s_waitcnt vmcnt(7)
	v_mul_f32_e32 v4, v22, v133
	v_mul_f32_e32 v5, v21, v133
	s_waitcnt vmcnt(6)
	v_mul_f32_e32 v6, v24, v129
	v_mul_f32_e32 v7, v23, v129
	v_fmac_f32_e32 v4, v21, v132
	v_fma_f32 v5, v22, v132, -v5
	v_fmac_f32_e32 v6, v23, v128
	v_fma_f32 v7, v24, v128, -v7
	ds_write2_b64 v154, v[4:5], v[6:7] offset0:200 offset1:225
	s_waitcnt vmcnt(4)
	v_mul_f32_e32 v4, v25, v127
	v_mul_f32_e32 v5, v26, v127
	v_fma_f32 v6, v26, v126, -v4
	s_waitcnt vmcnt(2)
	v_mul_f32_e32 v7, v28, v125
	v_mul_f32_e32 v4, v27, v125
	v_fmac_f32_e32 v5, v25, v126
	v_fmac_f32_e32 v7, v27, v124
	v_fma_f32 v8, v28, v124, -v4
	v_add_u32_e32 v4, 0x400, v154
	ds_write2_b64 v4, v[5:6], v[7:8] offset0:122 offset1:147
	s_waitcnt vmcnt(0)
	v_mul_f32_e32 v5, v30, v123
	v_mul_f32_e32 v6, v29, v123
	v_fmac_f32_e32 v13, v17, v139
	v_fmac_f32_e32 v5, v29, v122
	v_fma_f32 v6, v30, v122, -v6
	ds_write2_b64 v154, v[11:12], v[13:14] offset0:50 offset1:75
	ds_write_b64 v154, v[5:6] offset:2400
	s_and_saveexec_b64 s[2:3], vcc
	s_cbranch_execz .LBB0_3
; %bb.2:
	v_mov_b32_e32 v5, 0xfffff708
	v_mad_u64_u32 v[0:1], s[0:1], s12, v5, v[0:1]
	s_mul_i32 s0, s13, 0xfffff708
	s_sub_i32 s0, s0, s12
	v_add_u32_e32 v1, s0, v1
	global_load_dwordx2 v[5:6], v[0:1], off
	v_mov_b32_e32 v49, s17
	v_add_co_u32_e64 v0, s[0:1], s16, v0
	v_addc_co_u32_e64 v1, s[0:1], v1, v49, s[0:1]
	global_load_dwordx2 v[7:8], v[0:1], off
	v_add_co_u32_e64 v0, s[0:1], s16, v0
	v_addc_co_u32_e64 v1, s[0:1], v1, v49, s[0:1]
	global_load_dwordx2 v[9:10], v[0:1], off
	;; [unrolled: 3-line block ×3, first 2 shown]
	global_load_dwordx2 v[13:14], v[120:121], off offset:104
	global_load_dwordx2 v[15:16], v[120:121], off offset:304
	global_load_dwordx2 v[17:18], v[120:121], off offset:504
	global_load_dwordx2 v[19:20], v[120:121], off offset:704
	v_add_co_u32_e64 v0, s[0:1], s16, v0
	v_addc_co_u32_e64 v1, s[0:1], v1, v49, s[0:1]
	global_load_dwordx2 v[21:22], v[0:1], off
	v_add_co_u32_e64 v0, s[0:1], s16, v0
	v_addc_co_u32_e64 v1, s[0:1], v1, v49, s[0:1]
	global_load_dwordx2 v[23:24], v[0:1], off
	;; [unrolled: 3-line block ×4, first 2 shown]
	global_load_dwordx2 v[29:30], v[120:121], off offset:904
	global_load_dwordx2 v[31:32], v[120:121], off offset:1104
	;; [unrolled: 1-line block ×4, first 2 shown]
	v_add_co_u32_e64 v0, s[0:1], s16, v0
	v_addc_co_u32_e64 v1, s[0:1], v1, v49, s[0:1]
	global_load_dwordx2 v[37:38], v[0:1], off
	v_add_co_u32_e64 v0, s[0:1], s16, v0
	v_addc_co_u32_e64 v1, s[0:1], v1, v49, s[0:1]
	global_load_dwordx2 v[41:42], v[0:1], off
	global_load_dwordx2 v[43:44], v[120:121], off offset:1704
	global_load_dwordx2 v[45:46], v[120:121], off offset:1904
	v_or_b32_e32 v47, 0x120, v153
	v_mad_u64_u32 v[39:40], s[0:1], s12, v47, 0
	s_waitcnt vmcnt(2)
	v_mad_u64_u32 v[47:48], s[0:1], s13, v47, v[40:41]
	v_add_co_u32_e64 v0, s[0:1], s16, v0
	v_mov_b32_e32 v40, v47
	v_lshlrev_b64 v[39:40], 3, v[39:40]
	v_addc_co_u32_e64 v1, s[0:1], v1, v49, s[0:1]
	v_add_co_u32_e64 v2, s[0:1], v2, v39
	v_addc_co_u32_e64 v3, s[0:1], v3, v40, s[0:1]
	global_load_dwordx2 v[48:49], v[0:1], off
	global_load_dwordx2 v[39:40], v[2:3], off
	global_load_dwordx2 v[50:51], v[120:121], off offset:2104
	global_load_dwordx2 v[52:53], v[120:121], off offset:2304
	v_mov_b32_e32 v2, 0x190
	v_mad_u64_u32 v[0:1], s[0:1], s12, v2, v[0:1]
	s_mul_i32 s0, s13, 0x190
	v_add_u32_e32 v1, s0, v1
	global_load_dwordx2 v[2:3], v[0:1], off
	global_load_dwordx2 v[54:55], v[120:121], off offset:2504
	v_mul_f32_e32 v0, v6, v14
	v_mul_f32_e32 v1, v5, v14
	v_fmac_f32_e32 v0, v5, v13
	v_fma_f32 v1, v6, v13, -v1
	v_mul_f32_e32 v5, v8, v16
	v_mul_f32_e32 v6, v7, v16
	v_fmac_f32_e32 v5, v7, v15
	v_fma_f32 v6, v8, v15, -v6
	ds_write2_b64 v154, v[0:1], v[5:6] offset0:13 offset1:38
	v_mul_f32_e32 v0, v10, v18
	v_mul_f32_e32 v1, v9, v18
	v_mul_f32_e32 v5, v12, v20
	v_mul_f32_e32 v6, v11, v20
	v_fmac_f32_e32 v0, v9, v17
	v_fma_f32 v1, v10, v17, -v1
	v_fmac_f32_e32 v5, v11, v19
	v_fma_f32 v6, v12, v19, -v6
	ds_write2_b64 v154, v[0:1], v[5:6] offset0:63 offset1:88
	v_mul_f32_e32 v0, v22, v30
	v_mul_f32_e32 v1, v21, v30
	v_mul_f32_e32 v5, v24, v32
	v_mul_f32_e32 v6, v23, v32
	v_fmac_f32_e32 v0, v21, v29
	v_fma_f32 v1, v22, v29, -v1
	;; [unrolled: 9-line block ×3, first 2 shown]
	v_fmac_f32_e32 v5, v27, v35
	v_fma_f32 v6, v28, v35, -v6
	ds_write2_b64 v154, v[0:1], v[5:6] offset0:163 offset1:188
	s_waitcnt vmcnt(7)
	v_mul_f32_e32 v0, v38, v44
	v_mul_f32_e32 v1, v37, v44
	s_waitcnt vmcnt(6)
	v_mul_f32_e32 v5, v42, v46
	v_mul_f32_e32 v6, v41, v46
	v_fmac_f32_e32 v0, v37, v43
	v_fma_f32 v1, v38, v43, -v1
	v_fmac_f32_e32 v5, v41, v45
	v_fma_f32 v6, v42, v45, -v6
	ds_write2_b64 v154, v[0:1], v[5:6] offset0:213 offset1:238
	v_add_u32_e32 v7, 0x800, v154
	s_waitcnt vmcnt(3)
	v_mul_f32_e32 v0, v49, v51
	v_mul_f32_e32 v1, v48, v51
	s_waitcnt vmcnt(2)
	v_mul_f32_e32 v5, v40, v53
	v_mul_f32_e32 v6, v39, v53
	v_fmac_f32_e32 v0, v48, v50
	v_fma_f32 v1, v49, v50, -v1
	v_fmac_f32_e32 v5, v39, v52
	v_fma_f32 v6, v40, v52, -v6
	ds_write2_b64 v7, v[0:1], v[5:6] offset0:7 offset1:32
	s_waitcnt vmcnt(0)
	v_mul_f32_e32 v0, v3, v55
	v_mul_f32_e32 v1, v2, v55
	v_fmac_f32_e32 v0, v2, v54
	v_fma_f32 v1, v3, v54, -v1
	ds_write_b64 v154, v[0:1] offset:2504
.LBB0_3:
	s_or_b64 exec, exec, s[2:3]
	s_waitcnt lgkmcnt(0)
	; wave barrier
	s_waitcnt lgkmcnt(0)
	ds_read2_b64 v[44:47], v154 offset1:25
	ds_read2_b64 v[36:39], v154 offset0:50 offset1:75
	ds_read2_b64 v[28:31], v154 offset0:100 offset1:125
	;; [unrolled: 1-line block ×5, first 2 shown]
	ds_read_b64 v[52:53], v154 offset:2400
	s_load_dwordx2 s[2:3], s[4:5], 0x8
	v_mov_b32_e32 v0, 0
	v_mov_b32_e32 v1, 0
                                        ; implicit-def: $vgpr6
                                        ; implicit-def: $vgpr8
                                        ; implicit-def: $vgpr20
                                        ; implicit-def: $vgpr48
                                        ; implicit-def: $vgpr18
                                        ; implicit-def: $vgpr14
	s_and_saveexec_b64 s[0:1], vcc
	s_cbranch_execz .LBB0_5
; %bb.4:
	ds_read2_b64 v[0:3], v154 offset0:13 offset1:38
	ds_read2_b64 v[12:15], v154 offset0:63 offset1:88
	;; [unrolled: 1-line block ×5, first 2 shown]
	v_add_u32_e32 v20, 0x800, v154
	ds_read2_b64 v[20:23], v20 offset0:7 offset1:32
	ds_read_b64 v[48:49], v154 offset:2504
.LBB0_5:
	s_or_b64 exec, exec, s[0:1]
	s_waitcnt lgkmcnt(0)
	v_add_f32_e32 v50, v44, v46
	v_add_f32_e32 v51, v45, v47
	;; [unrolled: 1-line block ×23, first 2 shown]
	v_sub_f32_e32 v46, v46, v52
	v_sub_f32_e32 v47, v47, v53
	v_add_f32_e32 v51, v51, v43
	v_add_f32_e32 v50, v50, v52
	v_mul_f32_e32 v52, 0xbeedf032, v47
	s_mov_b32 s4, 0x3f62ad3f
	v_mul_f32_e32 v57, 0xbeedf032, v46
	v_mul_f32_e32 v59, 0xbf52af12, v47
	s_mov_b32 s5, 0x3f116cb1
	v_mul_f32_e32 v61, 0xbf52af12, v46
	;; [unrolled: 3-line block ×6, first 2 shown]
	v_add_f32_e32 v51, v51, v53
	v_fma_f32 v53, v55, s4, -v52
	v_mov_b32_e32 v58, v57
	v_fmac_f32_e32 v52, 0x3f62ad3f, v55
	v_fma_f32 v60, v55, s5, -v59
	v_mov_b32_e32 v62, v61
	v_fmac_f32_e32 v59, 0x3f116cb1, v55
	;; [unrolled: 3-line block ×6, first 2 shown]
	v_add_f32_e32 v53, v44, v53
	v_fmac_f32_e32 v58, 0x3f62ad3f, v56
	v_add_f32_e32 v52, v44, v52
	v_fma_f32 v57, v56, s4, -v57
	v_add_f32_e32 v60, v44, v60
	v_fmac_f32_e32 v62, 0x3f116cb1, v56
	v_add_f32_e32 v59, v44, v59
	v_fma_f32 v61, v56, s5, -v61
	v_add_f32_e32 v64, v44, v64
	v_fmac_f32_e32 v66, 0x3df6dbef, v56
	v_add_f32_e32 v63, v44, v63
	v_fma_f32 v65, v56, s12, -v65
	v_add_f32_e32 v68, v44, v68
	v_fmac_f32_e32 v70, 0xbeb58ec6, v56
	v_add_f32_e32 v67, v44, v67
	v_fma_f32 v69, v56, s13, -v69
	v_add_f32_e32 v72, v44, v72
	v_fmac_f32_e32 v74, 0xbf3f9e67, v56
	v_add_f32_e32 v71, v44, v71
	v_fma_f32 v73, v56, s16, -v73
	v_add_f32_e32 v75, v44, v75
	v_fmac_f32_e32 v76, 0xbf788fa5, v56
	v_add_f32_e32 v44, v44, v47
	v_fma_f32 v46, v56, s17, -v46
	v_add_f32_e32 v47, v43, v37
	v_sub_f32_e32 v37, v37, v43
	v_add_f32_e32 v58, v45, v58
	v_add_f32_e32 v57, v45, v57
	;; [unrolled: 1-line block ×13, first 2 shown]
	v_sub_f32_e32 v36, v36, v42
	v_mul_f32_e32 v42, 0xbf52af12, v37
	v_fma_f32 v43, v46, s5, -v42
	v_add_f32_e32 v43, v43, v53
	v_mul_f32_e32 v53, 0xbf52af12, v36
	v_fmac_f32_e32 v42, 0x3f116cb1, v46
	v_mov_b32_e32 v55, v53
	v_add_f32_e32 v42, v42, v52
	v_fma_f32 v52, v47, s5, -v53
	v_mul_f32_e32 v53, 0xbf6f5d39, v37
	v_fmac_f32_e32 v55, 0x3f116cb1, v47
	v_add_f32_e32 v52, v52, v57
	v_fma_f32 v56, v46, s13, -v53
	v_mul_f32_e32 v57, 0xbf6f5d39, v36
	v_fmac_f32_e32 v53, 0xbeb58ec6, v46
	v_add_f32_e32 v55, v55, v58
	v_mov_b32_e32 v58, v57
	v_add_f32_e32 v53, v53, v59
	v_fma_f32 v57, v47, s13, -v57
	v_mul_f32_e32 v59, 0xbe750f2a, v37
	v_add_f32_e32 v56, v56, v60
	v_fmac_f32_e32 v58, 0xbeb58ec6, v47
	v_add_f32_e32 v57, v57, v61
	v_fma_f32 v60, v46, s17, -v59
	v_mul_f32_e32 v61, 0xbe750f2a, v36
	v_fmac_f32_e32 v59, 0xbf788fa5, v46
	v_add_f32_e32 v58, v58, v62
	v_mov_b32_e32 v62, v61
	v_add_f32_e32 v59, v59, v63
	v_fma_f32 v61, v47, s17, -v61
	v_mul_f32_e32 v63, 0x3f29c268, v37
	v_add_f32_e32 v60, v60, v64
	;; [unrolled: 11-line block ×3, first 2 shown]
	v_add_f32_e32 v65, v65, v69
	v_fma_f32 v68, v46, s12, -v67
	v_mul_f32_e32 v69, 0x3f7e222b, v36
	v_mul_f32_e32 v36, 0x3eedf032, v36
	v_add_f32_e32 v68, v68, v72
	v_fmac_f32_e32 v67, 0x3df6dbef, v46
	v_mul_f32_e32 v37, 0x3eedf032, v37
	v_mov_b32_e32 v72, v36
	v_fma_f32 v36, v47, s4, -v36
	v_add_f32_e32 v67, v67, v71
	v_fma_f32 v71, v46, s4, -v37
	v_fmac_f32_e32 v37, 0x3f62ad3f, v46
	v_add_f32_e32 v36, v36, v45
	v_add_f32_e32 v45, v41, v39
	v_sub_f32_e32 v39, v39, v41
	v_add_f32_e32 v37, v37, v44
	v_add_f32_e32 v44, v40, v38
	v_sub_f32_e32 v38, v38, v40
	v_mul_f32_e32 v40, 0xbf7e222b, v39
	v_fma_f32 v41, v44, s12, -v40
	v_fmac_f32_e32 v66, 0xbf3f9e67, v47
	v_add_f32_e32 v41, v41, v43
	v_mul_f32_e32 v43, 0xbf7e222b, v38
	v_fmac_f32_e32 v40, 0x3df6dbef, v44
	v_add_f32_e32 v66, v66, v70
	v_mov_b32_e32 v70, v69
	v_mov_b32_e32 v46, v43
	v_add_f32_e32 v40, v40, v42
	v_fma_f32 v42, v45, s12, -v43
	v_mul_f32_e32 v43, 0xbe750f2a, v39
	v_fmac_f32_e32 v70, 0x3df6dbef, v47
	v_fma_f32 v69, v47, s12, -v69
	v_fmac_f32_e32 v72, 0x3f62ad3f, v47
	v_fma_f32 v47, v44, s17, -v43
	v_fmac_f32_e32 v43, 0xbf788fa5, v44
	v_fmac_f32_e32 v46, 0x3df6dbef, v45
	v_add_f32_e32 v42, v42, v52
	v_mul_f32_e32 v52, 0xbe750f2a, v38
	v_add_f32_e32 v43, v43, v53
	v_mul_f32_e32 v53, 0x3f6f5d39, v39
	v_add_f32_e32 v46, v46, v55
	v_add_f32_e32 v47, v47, v56
	v_mov_b32_e32 v55, v52
	v_fma_f32 v52, v45, s17, -v52
	v_fma_f32 v56, v44, s13, -v53
	v_fmac_f32_e32 v53, 0xbeb58ec6, v44
	v_fmac_f32_e32 v55, 0xbf788fa5, v45
	v_add_f32_e32 v52, v52, v57
	v_mul_f32_e32 v57, 0x3f6f5d39, v38
	v_add_f32_e32 v53, v53, v59
	v_mul_f32_e32 v59, 0x3eedf032, v39
	v_add_f32_e32 v55, v55, v58
	v_add_f32_e32 v56, v56, v60
	v_mov_b32_e32 v58, v57
	v_fma_f32 v57, v45, s13, -v57
	;; [unrolled: 11-line block ×3, first 2 shown]
	v_fma_f32 v64, v44, s5, -v63
	v_fmac_f32_e32 v63, 0x3f116cb1, v44
	v_mul_f32_e32 v39, 0xbf29c268, v39
	v_add_f32_e32 v61, v61, v65
	v_mul_f32_e32 v65, 0xbf52af12, v38
	v_add_f32_e32 v63, v63, v67
	v_fma_f32 v67, v44, s16, -v39
	v_mul_f32_e32 v38, 0xbf29c268, v38
	v_fmac_f32_e32 v39, 0xbf3f9e67, v44
	v_add_f32_e32 v64, v64, v68
	v_mov_b32_e32 v68, v38
	v_add_f32_e32 v37, v39, v37
	v_fma_f32 v38, v45, s16, -v38
	v_add_f32_e32 v39, v35, v29
	v_sub_f32_e32 v29, v29, v35
	v_add_f32_e32 v36, v38, v36
	v_add_f32_e32 v38, v34, v28
	v_sub_f32_e32 v28, v28, v34
	v_mul_f32_e32 v34, 0xbf6f5d39, v29
	v_fma_f32 v35, v38, s13, -v34
	v_fmac_f32_e32 v62, 0x3f62ad3f, v45
	v_add_f32_e32 v35, v35, v41
	v_mul_f32_e32 v41, 0xbf6f5d39, v28
	v_fmac_f32_e32 v34, 0xbeb58ec6, v38
	v_add_f32_e32 v62, v62, v66
	v_mov_b32_e32 v66, v65
	v_mov_b32_e32 v44, v41
	v_add_f32_e32 v34, v34, v40
	v_fma_f32 v40, v39, s13, -v41
	v_mul_f32_e32 v41, 0x3f29c268, v29
	v_fmac_f32_e32 v66, 0x3f116cb1, v45
	v_fma_f32 v65, v45, s5, -v65
	v_fmac_f32_e32 v68, 0xbf3f9e67, v45
	v_fmac_f32_e32 v44, 0xbeb58ec6, v39
	v_add_f32_e32 v40, v40, v42
	v_fma_f32 v42, v38, s16, -v41
	v_mul_f32_e32 v45, 0x3f29c268, v28
	v_fmac_f32_e32 v41, 0xbf3f9e67, v38
	v_add_f32_e32 v44, v44, v46
	v_mov_b32_e32 v46, v45
	v_add_f32_e32 v41, v41, v43
	v_fma_f32 v43, v39, s16, -v45
	v_mul_f32_e32 v45, 0x3eedf032, v29
	v_add_f32_e32 v42, v42, v47
	v_fma_f32 v47, v38, s4, -v45
	v_fmac_f32_e32 v45, 0x3f62ad3f, v38
	v_fmac_f32_e32 v46, 0xbf3f9e67, v39
	v_add_f32_e32 v43, v43, v52
	v_mul_f32_e32 v52, 0x3eedf032, v28
	v_add_f32_e32 v45, v45, v53
	v_mul_f32_e32 v53, 0xbf7e222b, v29
	v_add_f32_e32 v46, v46, v55
	v_add_f32_e32 v47, v47, v56
	v_mov_b32_e32 v55, v52
	v_fma_f32 v52, v39, s4, -v52
	v_fma_f32 v56, v38, s12, -v53
	v_fmac_f32_e32 v53, 0x3df6dbef, v38
	v_fmac_f32_e32 v55, 0x3f62ad3f, v39
	v_add_f32_e32 v52, v52, v57
	v_mul_f32_e32 v57, 0xbf7e222b, v28
	v_add_f32_e32 v53, v53, v59
	v_mul_f32_e32 v59, 0x3e750f2a, v29
	v_add_f32_e32 v55, v55, v58
	v_add_f32_e32 v56, v56, v60
	v_mov_b32_e32 v58, v57
	v_fma_f32 v57, v39, s12, -v57
	v_fma_f32 v60, v38, s17, -v59
	v_fmac_f32_e32 v59, 0xbf788fa5, v38
	v_mul_f32_e32 v29, 0x3f52af12, v29
	v_add_f32_e32 v57, v57, v61
	v_mul_f32_e32 v61, 0x3e750f2a, v28
	v_add_f32_e32 v59, v59, v63
	v_fma_f32 v63, v38, s5, -v29
	v_mul_f32_e32 v28, 0x3f52af12, v28
	v_fmac_f32_e32 v29, 0x3f116cb1, v38
	v_add_f32_e32 v60, v60, v64
	v_mov_b32_e32 v64, v28
	v_add_f32_e32 v29, v29, v37
	v_fma_f32 v28, v39, s5, -v28
	v_add_f32_e32 v37, v33, v31
	v_sub_f32_e32 v31, v31, v33
	v_add_f32_e32 v28, v28, v36
	v_add_f32_e32 v36, v32, v30
	v_sub_f32_e32 v30, v30, v32
	v_mul_f32_e32 v32, 0xbf29c268, v31
	v_fma_f32 v33, v36, s16, -v32
	v_fmac_f32_e32 v58, 0x3df6dbef, v39
	v_add_f32_e32 v33, v33, v35
	v_mul_f32_e32 v35, 0xbf29c268, v30
	v_fmac_f32_e32 v32, 0xbf3f9e67, v36
	v_add_f32_e32 v58, v58, v62
	v_mov_b32_e32 v62, v61
	v_mov_b32_e32 v38, v35
	v_add_f32_e32 v32, v32, v34
	v_fma_f32 v34, v37, s16, -v35
	v_mul_f32_e32 v35, 0x3f7e222b, v31
	v_fmac_f32_e32 v62, 0xbf788fa5, v39
	v_fma_f32 v61, v39, s17, -v61
	v_fmac_f32_e32 v64, 0x3f116cb1, v39
	v_add_f32_e32 v34, v34, v40
	v_fma_f32 v39, v36, s12, -v35
	v_mul_f32_e32 v40, 0x3f7e222b, v30
	v_fmac_f32_e32 v35, 0x3df6dbef, v36
	v_add_f32_e32 v39, v39, v42
	v_mov_b32_e32 v42, v40
	v_add_f32_e32 v35, v35, v41
	v_fma_f32 v40, v37, s12, -v40
	v_mul_f32_e32 v41, 0xbf52af12, v31
	v_fmac_f32_e32 v38, 0xbf3f9e67, v37
	v_add_f32_e32 v40, v40, v43
	v_fma_f32 v43, v36, s5, -v41
	v_fmac_f32_e32 v41, 0x3f116cb1, v36
	v_add_f32_e32 v38, v38, v44
	v_fmac_f32_e32 v42, 0x3df6dbef, v37
	v_mul_f32_e32 v44, 0xbf52af12, v30
	v_add_f32_e32 v41, v41, v45
	v_mul_f32_e32 v45, 0x3e750f2a, v31
	v_add_f32_e32 v42, v42, v46
	v_add_f32_e32 v43, v43, v47
	v_mov_b32_e32 v46, v44
	v_fma_f32 v44, v37, s5, -v44
	v_fma_f32 v47, v36, s17, -v45
	v_fmac_f32_e32 v45, 0xbf788fa5, v36
	v_fmac_f32_e32 v46, 0x3f116cb1, v37
	v_add_f32_e32 v44, v44, v52
	v_mul_f32_e32 v52, 0x3e750f2a, v30
	v_add_f32_e32 v45, v45, v53
	v_mul_f32_e32 v53, 0x3eedf032, v31
	v_add_f32_e32 v46, v46, v55
	v_add_f32_e32 v47, v47, v56
	v_mov_b32_e32 v55, v52
	v_fma_f32 v52, v37, s17, -v52
	v_fma_f32 v56, v36, s4, -v53
	v_fmac_f32_e32 v53, 0x3f62ad3f, v36
	v_mul_f32_e32 v31, 0xbf6f5d39, v31
	v_add_f32_e32 v52, v52, v57
	v_mul_f32_e32 v57, 0x3eedf032, v30
	v_add_f32_e32 v53, v53, v59
	v_fma_f32 v59, v36, s13, -v31
	v_mul_f32_e32 v30, 0xbf6f5d39, v30
	v_fmac_f32_e32 v31, 0xbeb58ec6, v36
	v_add_f32_e32 v56, v56, v60
	v_mov_b32_e32 v60, v30
	v_add_f32_e32 v29, v31, v29
	v_fma_f32 v30, v37, s13, -v30
	v_add_f32_e32 v31, v27, v25
	v_sub_f32_e32 v25, v25, v27
	v_add_f32_e32 v69, v69, v73
	v_add_f32_e32 v28, v30, v28
	;; [unrolled: 1-line block ×3, first 2 shown]
	v_sub_f32_e32 v24, v24, v26
	v_mul_f32_e32 v26, 0xbe750f2a, v25
	v_add_f32_e32 v71, v71, v75
	v_add_f32_e32 v65, v65, v69
	v_fma_f32 v27, v30, s17, -v26
	v_add_f32_e32 v72, v72, v76
	v_add_f32_e32 v67, v67, v71
	;; [unrolled: 1-line block ×4, first 2 shown]
	v_mul_f32_e32 v27, 0xbe750f2a, v24
	v_fmac_f32_e32 v26, 0xbf788fa5, v30
	v_add_f32_e32 v68, v68, v72
	v_add_f32_e32 v63, v63, v67
	;; [unrolled: 1-line block ×3, first 2 shown]
	v_fma_f32 v26, v31, s17, -v27
	v_add_f32_e32 v64, v64, v68
	v_add_f32_e32 v68, v26, v34
	v_mul_f32_e32 v26, 0x3eedf032, v25
	v_mov_b32_e32 v33, v27
	v_fma_f32 v27, v30, s4, -v26
	v_add_f32_e32 v69, v27, v39
	v_mul_f32_e32 v27, 0x3eedf032, v24
	v_fmac_f32_e32 v26, 0x3f62ad3f, v30
	v_add_f32_e32 v71, v26, v35
	v_fma_f32 v26, v31, s4, -v27
	v_add_f32_e32 v72, v26, v40
	v_mul_f32_e32 v26, 0xbf29c268, v25
	v_mov_b32_e32 v32, v27
	v_fma_f32 v27, v30, s16, -v26
	v_add_f32_e32 v73, v27, v43
	v_mul_f32_e32 v27, 0xbf29c268, v24
	v_fmac_f32_e32 v26, 0xbf3f9e67, v30
	v_add_f32_e32 v75, v26, v41
	v_fma_f32 v26, v31, s16, -v27
	v_add_f32_e32 v70, v70, v74
	v_fmac_f32_e32 v32, 0x3f62ad3f, v31
	v_add_f32_e32 v76, v26, v44
	v_mul_f32_e32 v26, 0x3f52af12, v25
	v_add_f32_e32 v66, v66, v70
	v_add_f32_e32 v70, v32, v42
	v_mov_b32_e32 v32, v27
	v_fma_f32 v27, v30, s5, -v26
	v_add_f32_e32 v77, v27, v47
	v_mul_f32_e32 v27, 0x3f52af12, v24
	v_fmac_f32_e32 v26, 0x3f116cb1, v30
	v_add_f32_e32 v79, v26, v45
	v_fma_f32 v26, v31, s5, -v27
	v_fmac_f32_e32 v32, 0xbf3f9e67, v31
	v_add_f32_e32 v80, v26, v52
	v_mul_f32_e32 v26, 0xbf6f5d39, v25
	v_fmac_f32_e32 v55, 0xbf788fa5, v37
	v_add_f32_e32 v74, v32, v46
	v_mov_b32_e32 v32, v27
	v_fma_f32 v27, v30, s13, -v26
	v_add_f32_e32 v55, v55, v58
	v_mov_b32_e32 v58, v57
	v_fma_f32 v57, v37, s4, -v57
	v_add_f32_e32 v81, v27, v56
	v_mul_f32_e32 v27, 0xbf6f5d39, v24
	v_fmac_f32_e32 v26, 0xbeb58ec6, v30
	v_add_f32_e32 v57, v57, v61
	v_add_f32_e32 v83, v26, v53
	v_fma_f32 v26, v31, s13, -v27
	v_mul_f32_e32 v25, 0x3f7e222b, v25
	v_add_f32_e32 v59, v59, v63
	v_add_f32_e32 v84, v26, v57
	v_fma_f32 v26, v30, s12, -v25
	v_mul_f32_e32 v24, 0x3f7e222b, v24
	v_sub_f32_e32 v45, v3, v49
	v_fmac_f32_e32 v60, 0xbeb58ec6, v37
	v_add_f32_e32 v85, v26, v59
	v_mov_b32_e32 v26, v24
	v_fmac_f32_e32 v25, 0x3df6dbef, v30
	v_fma_f32 v24, v31, s12, -v24
	v_mul_f32_e32 v36, 0xbeedf032, v45
	v_add_f32_e32 v60, v60, v64
	v_fmac_f32_e32 v32, 0x3f116cb1, v31
	v_fmac_f32_e32 v26, 0x3df6dbef, v31
	v_add_f32_e32 v87, v25, v29
	v_add_f32_e32 v88, v24, v28
	v_add_f32_e32 v24, v48, v2
	v_sub_f32_e32 v56, v2, v48
	v_mov_b32_e32 v25, v36
	v_add_f32_e32 v62, v62, v66
	v_fmac_f32_e32 v58, 0x3f62ad3f, v37
	v_add_f32_e32 v78, v32, v55
	v_mov_b32_e32 v32, v27
	v_add_f32_e32 v86, v26, v60
	v_add_f32_e32 v26, v49, v3
	v_mul_f32_e32 v40, 0xbeedf032, v56
	v_fmac_f32_e32 v25, 0x3f62ad3f, v24
	v_sub_f32_e32 v47, v13, v23
	v_add_f32_e32 v58, v58, v62
	v_fmac_f32_e32 v32, 0xbeb58ec6, v31
	v_add_f32_e32 v27, v25, v0
	v_fma_f32 v25, v26, s4, -v40
	v_mul_f32_e32 v37, 0xbf52af12, v47
	v_add_f32_e32 v82, v32, v58
	v_add_f32_e32 v29, v25, v1
	;; [unrolled: 1-line block ×3, first 2 shown]
	v_sub_f32_e32 v58, v12, v22
	v_mov_b32_e32 v30, v37
	v_fmac_f32_e32 v33, 0xbf788fa5, v31
	v_add_f32_e32 v28, v23, v13
	v_mul_f32_e32 v42, 0xbf52af12, v58
	v_fmac_f32_e32 v30, 0x3f116cb1, v25
	v_sub_f32_e32 v55, v15, v21
	v_add_f32_e32 v66, v33, v38
	v_add_f32_e32 v31, v30, v27
	v_fma_f32 v27, v28, s5, -v42
	v_mul_f32_e32 v38, 0xbf7e222b, v55
	v_add_f32_e32 v29, v27, v29
	v_add_f32_e32 v27, v20, v14
	v_sub_f32_e32 v61, v14, v20
	v_mov_b32_e32 v32, v38
	v_add_f32_e32 v30, v21, v15
	v_mul_f32_e32 v44, 0xbf7e222b, v61
	v_fmac_f32_e32 v32, 0x3df6dbef, v27
	v_sub_f32_e32 v57, v17, v11
	v_add_f32_e32 v31, v32, v31
	v_fma_f32 v32, v30, s12, -v44
	v_mul_f32_e32 v39, 0xbf6f5d39, v57
	v_add_f32_e32 v32, v32, v29
	v_add_f32_e32 v29, v10, v16
	v_sub_f32_e32 v63, v16, v10
	v_mov_b32_e32 v34, v39
	v_add_f32_e32 v33, v11, v17
	v_mul_f32_e32 v46, 0xbf6f5d39, v63
	v_fmac_f32_e32 v34, 0xbeb58ec6, v29
	v_sub_f32_e32 v59, v19, v9
	;; [unrolled: 11-line block ×3, first 2 shown]
	v_add_f32_e32 v89, v43, v35
	v_fma_f32 v35, v34, s16, -v52
	v_mul_f32_e32 v43, 0xbe750f2a, v60
	v_add_f32_e32 v90, v35, v32
	v_add_f32_e32 v32, v6, v4
	v_sub_f32_e32 v62, v4, v6
	v_mov_b32_e32 v91, v43
	v_add_f32_e32 v35, v7, v5
	v_mul_f32_e32 v53, 0xbe750f2a, v62
	v_fmac_f32_e32 v91, 0xbf788fa5, v32
	v_add_f32_e32 v149, v91, v89
	v_fma_f32 v89, v35, s17, -v53
	v_add_co_u32_e64 v54, s[0:1], 13, v153
	v_add_f32_e32 v150, v89, v90
	v_mul_lo_u16_e32 v89, 13, v153
	v_lshl_add_u32 v158, v89, 3, v155
	v_mul_u32_u24_e32 v156, 13, v54
	s_waitcnt lgkmcnt(0)
	; wave barrier
	ds_write2_b64 v158, v[50:51], v[65:66] offset1:1
	ds_write2_b64 v158, v[69:70], v[73:74] offset0:2 offset1:3
	ds_write2_b64 v158, v[77:78], v[81:82] offset0:4 offset1:5
	;; [unrolled: 1-line block ×5, first 2 shown]
	ds_write_b64 v158, v[67:68] offset:96
	s_and_saveexec_b64 s[0:1], vcc
	s_cbranch_execz .LBB0_7
; %bb.6:
	v_mul_f32_e32 v71, 0xbe750f2a, v56
	v_mov_b32_e32 v50, v71
	v_mul_f32_e32 v72, 0x3eedf032, v58
	v_fmac_f32_e32 v50, 0xbf788fa5, v26
	v_mov_b32_e32 v51, v72
	v_add_f32_e32 v50, v50, v1
	v_fmac_f32_e32 v51, 0x3f62ad3f, v28
	v_mul_f32_e32 v73, 0xbf29c268, v61
	v_add_f32_e32 v50, v51, v50
	v_mov_b32_e32 v51, v73
	v_fmac_f32_e32 v51, 0xbf3f9e67, v30
	v_mul_f32_e32 v74, 0x3f52af12, v63
	v_add_f32_e32 v50, v51, v50
	v_mov_b32_e32 v51, v74
	v_fmac_f32_e32 v51, 0x3f116cb1, v33
	v_mul_f32_e32 v75, 0xbf6f5d39, v64
	v_add_f32_e32 v50, v51, v50
	v_mov_b32_e32 v51, v75
	v_fmac_f32_e32 v51, 0xbeb58ec6, v34
	v_mul_f32_e32 v76, 0x3f7e222b, v62
	v_add_f32_e32 v50, v51, v50
	v_mov_b32_e32 v51, v76
	v_fmac_f32_e32 v51, 0x3df6dbef, v35
	v_mul_f32_e32 v77, 0xbe750f2a, v45
	v_add_f32_e32 v51, v51, v50
	v_fma_f32 v50, v24, s17, -v77
	v_mul_f32_e32 v78, 0x3eedf032, v47
	v_add_f32_e32 v50, v50, v0
	v_fma_f32 v65, v25, s4, -v78
	v_mul_f32_e32 v79, 0xbf29c268, v55
	v_add_f32_e32 v50, v65, v50
	v_fma_f32 v65, v27, s16, -v79
	v_mul_f32_e32 v80, 0x3f52af12, v57
	v_add_f32_e32 v50, v65, v50
	v_fma_f32 v65, v29, s5, -v80
	v_mul_f32_e32 v81, 0xbf6f5d39, v59
	v_add_f32_e32 v50, v65, v50
	v_fma_f32 v65, v31, s13, -v81
	v_mul_f32_e32 v82, 0x3f7e222b, v60
	v_add_f32_e32 v50, v65, v50
	v_fma_f32 v65, v32, s12, -v82
	v_mul_f32_e32 v83, 0xbf29c268, v56
	v_add_f32_e32 v50, v65, v50
	v_mov_b32_e32 v65, v83
	v_mul_f32_e32 v84, 0x3f7e222b, v58
	v_fmac_f32_e32 v65, 0xbf3f9e67, v26
	v_mov_b32_e32 v66, v84
	v_add_f32_e32 v65, v65, v1
	v_fmac_f32_e32 v66, 0x3df6dbef, v28
	v_mul_f32_e32 v85, 0xbf52af12, v61
	v_add_f32_e32 v65, v66, v65
	v_mov_b32_e32 v66, v85
	v_fmac_f32_e32 v66, 0x3f116cb1, v30
	v_mul_f32_e32 v86, 0x3e750f2a, v63
	v_add_f32_e32 v65, v66, v65
	v_mov_b32_e32 v66, v86
	v_fmac_f32_e32 v66, 0xbf788fa5, v33
	v_mul_f32_e32 v87, 0x3eedf032, v64
	v_add_f32_e32 v65, v66, v65
	v_mov_b32_e32 v66, v87
	v_fmac_f32_e32 v66, 0x3f62ad3f, v34
	v_mul_f32_e32 v88, 0xbf6f5d39, v62
	v_add_f32_e32 v65, v66, v65
	v_mov_b32_e32 v66, v88
	v_fmac_f32_e32 v66, 0xbeb58ec6, v35
	v_mul_f32_e32 v89, 0xbf29c268, v45
	v_add_f32_e32 v66, v66, v65
	v_fma_f32 v65, v24, s16, -v89
	v_mul_f32_e32 v90, 0x3f7e222b, v47
	v_add_f32_e32 v65, v65, v0
	v_fma_f32 v67, v25, s12, -v90
	v_mul_f32_e32 v91, 0xbf52af12, v55
	v_add_f32_e32 v65, v67, v65
	v_fma_f32 v67, v27, s5, -v91
	v_mul_f32_e32 v92, 0x3e750f2a, v57
	v_add_f32_e32 v65, v67, v65
	v_fma_f32 v67, v29, s17, -v92
	v_mul_f32_e32 v93, 0x3eedf032, v59
	v_add_f32_e32 v65, v67, v65
	v_fma_f32 v67, v31, s4, -v93
	v_mul_f32_e32 v94, 0xbf6f5d39, v60
	v_add_f32_e32 v65, v67, v65
	v_fma_f32 v67, v32, s13, -v94
	v_mul_f32_e32 v95, 0xbf6f5d39, v56
	v_add_f32_e32 v65, v67, v65
	v_mov_b32_e32 v67, v95
	v_mul_f32_e32 v96, 0x3f29c268, v58
	v_fmac_f32_e32 v67, 0xbeb58ec6, v26
	v_mov_b32_e32 v68, v96
	v_add_f32_e32 v67, v67, v1
	v_fmac_f32_e32 v68, 0xbf3f9e67, v28
	v_mul_f32_e32 v97, 0x3eedf032, v61
	v_add_f32_e32 v67, v68, v67
	v_mov_b32_e32 v68, v97
	v_fmac_f32_e32 v68, 0x3f62ad3f, v30
	v_mul_f32_e32 v99, 0xbf7e222b, v63
	v_add_f32_e32 v67, v68, v67
	v_mov_b32_e32 v68, v99
	v_fmac_f32_e32 v68, 0x3df6dbef, v33
	v_mul_f32_e32 v100, 0x3e750f2a, v64
	v_add_f32_e32 v67, v68, v67
	v_mov_b32_e32 v68, v100
	v_fmac_f32_e32 v68, 0xbf788fa5, v34
	v_mul_f32_e32 v101, 0x3f52af12, v62
	v_add_f32_e32 v67, v68, v67
	v_mov_b32_e32 v68, v101
	v_fmac_f32_e32 v68, 0x3f116cb1, v35
	v_mul_f32_e32 v102, 0xbf6f5d39, v45
	v_add_f32_e32 v68, v68, v67
	v_fma_f32 v67, v24, s13, -v102
	v_mul_f32_e32 v103, 0x3f29c268, v47
	v_add_f32_e32 v67, v67, v0
	v_fma_f32 v69, v25, s16, -v103
	v_mul_f32_e32 v104, 0x3eedf032, v55
	v_add_f32_e32 v67, v69, v67
	v_fma_f32 v69, v27, s4, -v104
	v_mul_f32_e32 v105, 0xbf7e222b, v57
	v_add_f32_e32 v67, v69, v67
	v_fma_f32 v69, v29, s12, -v105
	v_mul_f32_e32 v106, 0x3e750f2a, v59
	v_add_f32_e32 v67, v69, v67
	v_fma_f32 v69, v31, s17, -v106
	v_mul_f32_e32 v107, 0x3f52af12, v60
	v_add_f32_e32 v67, v69, v67
	v_fma_f32 v69, v32, s5, -v107
	v_mul_f32_e32 v108, 0xbf7e222b, v56
	v_add_f32_e32 v67, v69, v67
	v_mov_b32_e32 v69, v108
	v_mul_f32_e32 v109, 0xbe750f2a, v58
	v_fmac_f32_e32 v69, 0x3df6dbef, v26
	v_mov_b32_e32 v70, v109
	v_add_f32_e32 v69, v69, v1
	v_fmac_f32_e32 v70, 0xbf788fa5, v28
	v_mul_f32_e32 v110, 0x3f6f5d39, v61
	v_add_f32_e32 v69, v70, v69
	v_mov_b32_e32 v70, v110
	v_fmac_f32_e32 v70, 0xbeb58ec6, v30
	v_mul_f32_e32 v111, 0x3eedf032, v63
	v_add_f32_e32 v69, v70, v69
	v_mov_b32_e32 v70, v111
	;; [unrolled: 4-line block ×3, first 2 shown]
	v_fmac_f32_e32 v70, 0x3f116cb1, v34
	v_mul_f32_e32 v113, 0xbf7e222b, v45
	v_add_f32_e32 v69, v70, v69
	v_fma_f32 v70, v24, s12, -v113
	v_mul_f32_e32 v114, 0xbe750f2a, v47
	v_add_f32_e32 v70, v70, v0
	v_fma_f32 v115, v25, s17, -v114
	v_add_f32_e32 v70, v115, v70
	v_mul_f32_e32 v115, 0x3f6f5d39, v55
	v_fma_f32 v116, v27, s13, -v115
	v_add_f32_e32 v70, v116, v70
	v_mul_f32_e32 v116, 0x3eedf032, v57
	;; [unrolled: 3-line block ×3, first 2 shown]
	v_fma_f32 v118, v31, s5, -v117
	v_mul_f32_e32 v119, 0xbf29c268, v62
	v_add_f32_e32 v118, v118, v70
	v_mov_b32_e32 v70, v119
	v_fmac_f32_e32 v70, 0xbf3f9e67, v35
	v_mul_f32_e32 v151, 0xbf29c268, v60
	v_add_f32_e32 v70, v70, v69
	v_fma_f32 v69, v32, s16, -v151
	v_add_f32_e32 v69, v69, v118
	v_mul_f32_e32 v118, 0xbf52af12, v56
	v_mov_b32_e32 v56, v118
	v_mul_f32_e32 v58, 0xbf6f5d39, v58
	v_fmac_f32_e32 v56, 0x3f116cb1, v26
	v_mov_b32_e32 v152, v58
	v_add_f32_e32 v56, v56, v1
	v_fmac_f32_e32 v152, 0xbeb58ec6, v28
	v_mul_f32_e32 v61, 0xbe750f2a, v61
	v_add_f32_e32 v56, v152, v56
	v_mov_b32_e32 v152, v61
	v_fmac_f32_e32 v152, 0xbf788fa5, v30
	v_mul_f32_e32 v63, 0x3f29c268, v63
	v_add_f32_e32 v56, v152, v56
	v_mov_b32_e32 v152, v63
	v_fmac_f32_e32 v152, 0xbf3f9e67, v33
	v_mul_f32_e32 v64, 0x3f7e222b, v64
	v_add_f32_e32 v56, v152, v56
	v_mov_b32_e32 v152, v64
	v_fmac_f32_e32 v152, 0x3df6dbef, v34
	v_mul_f32_e32 v45, 0xbf52af12, v45
	v_add_f32_e32 v56, v152, v56
	v_fma_f32 v152, v24, s5, -v45
	v_mul_f32_e32 v47, 0xbf6f5d39, v47
	v_add_f32_e32 v152, v152, v0
	v_fma_f32 v157, v25, s13, -v47
	v_add_f32_e32 v152, v157, v152
	v_mul_f32_e32 v157, 0xbe750f2a, v55
	v_fma_f32 v55, v27, s17, -v157
	v_mul_f32_e32 v57, 0x3f29c268, v57
	v_add_f32_e32 v55, v55, v152
	v_fma_f32 v152, v29, s16, -v57
	v_mul_f32_e32 v59, 0x3f7e222b, v59
	v_add_f32_e32 v55, v152, v55
	;; [unrolled: 3-line block ×3, first 2 shown]
	v_add_f32_e32 v55, v152, v55
	v_mov_b32_e32 v152, v62
	v_add_f32_e32 v3, v3, v1
	v_add_f32_e32 v2, v12, v2
	v_fmac_f32_e32 v152, 0x3f62ad3f, v35
	v_mul_f32_e32 v60, 0x3eedf032, v60
	v_add_f32_e32 v3, v13, v3
	v_add_f32_e32 v2, v14, v2
	v_add_f32_e32 v56, v152, v56
	v_fma_f32 v152, v32, s4, -v60
	v_add_f32_e32 v3, v15, v3
	v_add_f32_e32 v2, v16, v2
	;; [unrolled: 1-line block ×3, first 2 shown]
	v_mul_f32_e32 v152, 0x3f62ad3f, v26
	v_add_f32_e32 v3, v17, v3
	v_add_f32_e32 v2, v18, v2
	;; [unrolled: 1-line block ×3, first 2 shown]
	v_mul_f32_e32 v152, 0x3f116cb1, v28
	v_add_f32_e32 v3, v19, v3
	v_add_f32_e32 v2, v4, v2
	;; [unrolled: 1-line block ×7, first 2 shown]
	v_mul_f32_e32 v42, 0x3df6dbef, v30
	v_add_f32_e32 v3, v7, v3
	v_add_f32_e32 v2, v8, v2
	;; [unrolled: 1-line block ×3, first 2 shown]
	v_mul_f32_e32 v44, 0x3f62ad3f, v24
	v_add_f32_e32 v3, v9, v3
	v_add_f32_e32 v2, v10, v2
	v_fma_f32 v4, v26, s17, -v71
	v_fma_f32 v6, v26, s16, -v83
	;; [unrolled: 1-line block ×4, first 2 shown]
	v_sub_f32_e32 v36, v44, v36
	v_mul_f32_e32 v44, 0x3f116cb1, v25
	v_add_f32_e32 v3, v11, v3
	v_add_f32_e32 v4, v4, v1
	v_fma_f32 v5, v28, s4, -v72
	v_add_f32_e32 v6, v6, v1
	v_fma_f32 v7, v28, s12, -v84
	;; [unrolled: 2-line block ×4, first 2 shown]
	v_sub_f32_e32 v37, v44, v37
	v_add_f32_e32 v36, v36, v0
	v_add_f32_e32 v4, v5, v4
	v_fma_f32 v5, v30, s16, -v73
	v_add_f32_e32 v6, v7, v6
	v_fma_f32 v7, v30, s5, -v85
	v_add_f32_e32 v8, v9, v8
	v_fma_f32 v9, v30, s4, -v97
	v_add_f32_e32 v10, v11, v10
	v_fma_f32 v11, v30, s13, -v110
	v_add_f32_e32 v36, v37, v36
	v_mul_f32_e32 v37, 0x3df6dbef, v27
	v_add_f32_e32 v4, v5, v4
	v_fma_f32 v5, v33, s5, -v74
	v_add_f32_e32 v6, v7, v6
	v_fma_f32 v7, v33, s17, -v86
	;; [unrolled: 2-line block ×4, first 2 shown]
	v_add_f32_e32 v40, v42, v40
	v_mul_f32_e32 v42, 0xbeb58ec6, v33
	v_sub_f32_e32 v37, v37, v38
	v_add_f32_e32 v4, v5, v4
	v_fma_f32 v5, v34, s13, -v75
	v_add_f32_e32 v6, v7, v6
	v_fma_f32 v7, v34, s4, -v87
	;; [unrolled: 2-line block ×4, first 2 shown]
	v_fma_f32 v12, v26, s5, -v118
	v_add_f32_e32 v42, v46, v42
	v_add_f32_e32 v36, v37, v36
	v_mul_f32_e32 v37, 0xbeb58ec6, v29
	v_add_f32_e32 v4, v5, v4
	v_fma_f32 v5, v35, s12, -v76
	v_fmac_f32_e32 v77, 0xbf788fa5, v24
	v_add_f32_e32 v6, v7, v6
	v_fma_f32 v7, v35, s13, -v88
	v_fmac_f32_e32 v89, 0xbf3f9e67, v24
	;; [unrolled: 3-line block ×5, first 2 shown]
	v_add_f32_e32 v40, v42, v40
	v_mul_f32_e32 v42, 0xbf3f9e67, v34
	v_sub_f32_e32 v37, v37, v39
	v_add_f32_e32 v5, v5, v4
	v_add_f32_e32 v4, v77, v0
	v_fmac_f32_e32 v78, 0x3f62ad3f, v25
	v_add_f32_e32 v7, v7, v6
	v_add_f32_e32 v6, v89, v0
	v_fmac_f32_e32 v90, 0x3df6dbef, v25
	v_add_f32_e32 v9, v9, v8
	v_add_f32_e32 v8, v102, v0
	v_fmac_f32_e32 v103, 0xbf3f9e67, v25
	v_add_f32_e32 v11, v11, v10
	v_add_f32_e32 v10, v113, v0
	v_fmac_f32_e32 v114, 0xbf788fa5, v25
	v_add_f32_e32 v1, v12, v1
	v_fma_f32 v12, v30, s17, -v61
	v_add_f32_e32 v0, v45, v0
	v_fmac_f32_e32 v47, 0xbeb58ec6, v25
	v_add_f32_e32 v42, v52, v42
	v_add_f32_e32 v36, v37, v36
	v_mul_f32_e32 v37, 0xbf3f9e67, v31
	v_add_f32_e32 v4, v78, v4
	v_fmac_f32_e32 v79, 0xbf3f9e67, v27
	v_add_f32_e32 v6, v90, v6
	v_fmac_f32_e32 v91, 0x3f116cb1, v27
	;; [unrolled: 2-line block ×4, first 2 shown]
	v_add_f32_e32 v1, v12, v1
	v_fma_f32 v12, v33, s16, -v63
	v_add_f32_e32 v0, v47, v0
	v_fmac_f32_e32 v157, 0xbf788fa5, v27
	v_add_f32_e32 v40, v42, v40
	v_mul_f32_e32 v42, 0xbf788fa5, v35
	v_sub_f32_e32 v37, v37, v41
	v_mul_f32_e32 v38, 0xbf788fa5, v32
	v_add_f32_e32 v3, v21, v3
	v_add_f32_e32 v2, v20, v2
	;; [unrolled: 1-line block ×3, first 2 shown]
	v_fmac_f32_e32 v80, 0x3f116cb1, v29
	v_add_f32_e32 v6, v91, v6
	v_fmac_f32_e32 v92, 0xbf788fa5, v29
	v_add_f32_e32 v8, v104, v8
	;; [unrolled: 2-line block ×4, first 2 shown]
	v_fma_f32 v12, v34, s12, -v64
	v_add_f32_e32 v0, v157, v0
	v_fmac_f32_e32 v57, 0xbf3f9e67, v29
	v_add_f32_e32 v42, v53, v42
	v_add_f32_e32 v36, v37, v36
	v_sub_f32_e32 v38, v38, v43
	v_add_f32_e32 v3, v23, v3
	v_add_f32_e32 v2, v22, v2
	;; [unrolled: 1-line block ×3, first 2 shown]
	v_fmac_f32_e32 v81, 0xbeb58ec6, v31
	v_add_f32_e32 v6, v92, v6
	v_fmac_f32_e32 v93, 0x3f62ad3f, v31
	v_add_f32_e32 v8, v105, v8
	;; [unrolled: 2-line block ×4, first 2 shown]
	v_fma_f32 v12, v35, s4, -v62
	v_add_f32_e32 v0, v57, v0
	v_fmac_f32_e32 v59, 0x3df6dbef, v31
	v_add_f32_e32 v37, v42, v40
	v_add_f32_e32 v36, v38, v36
	v_add_f32_e32 v3, v49, v3
	v_add_f32_e32 v2, v48, v2
	v_add_f32_e32 v4, v81, v4
	v_fmac_f32_e32 v82, 0x3df6dbef, v32
	v_add_f32_e32 v6, v93, v6
	v_fmac_f32_e32 v94, 0xbeb58ec6, v32
	v_add_f32_e32 v8, v106, v8
	v_fmac_f32_e32 v107, 0x3f116cb1, v32
	v_add_f32_e32 v10, v117, v10
	v_fmac_f32_e32 v151, 0xbf3f9e67, v32
	v_add_f32_e32 v1, v12, v1
	v_add_f32_e32 v0, v59, v0
	v_fmac_f32_e32 v60, 0x3f62ad3f, v32
	v_lshl_add_u32 v12, v156, 3, v155
	v_add_f32_e32 v4, v82, v4
	v_add_f32_e32 v6, v94, v6
	;; [unrolled: 1-line block ×5, first 2 shown]
	ds_write2_b64 v12, v[2:3], v[36:37] offset1:1
	ds_write2_b64 v12, v[55:56], v[69:70] offset0:2 offset1:3
	ds_write2_b64 v12, v[67:68], v[65:66] offset0:4 offset1:5
	;; [unrolled: 1-line block ×5, first 2 shown]
	ds_write_b64 v12, v[149:150] offset:96
.LBB0_7:
	s_or_b64 exec, exec, s[0:1]
	v_add_co_u32_e64 v44, s[0:1], 26, v153
	s_movk_i32 s4, 0x4f
	v_mul_lo_u16_sdwa v8, v44, s4 dst_sel:DWORD dst_unused:UNUSED_PAD src0_sel:BYTE_0 src1_sel:DWORD
	v_lshrrev_b16_e32 v8, 10, v8
	v_mul_lo_u16_e32 v8, 13, v8
	v_sub_u16_e32 v46, v44, v8
	v_lshlrev_b16_e32 v8, 2, v46
	v_and_b32_e32 v8, 0xfc, v8
	v_lshlrev_b32_e32 v45, 5, v153
	v_lshlrev_b32_e32 v16, 3, v8
	v_add_co_u32_e64 v52, s[0:1], 39, v153
	s_waitcnt lgkmcnt(0)
	; wave barrier
	s_waitcnt lgkmcnt(0)
	global_load_dwordx4 v[4:7], v45, s[2:3]
	global_load_dwordx4 v[0:3], v45, s[2:3] offset:16
	global_load_dwordx4 v[12:15], v16, s[2:3]
	global_load_dwordx4 v[8:11], v16, s[2:3] offset:16
	v_mul_lo_u16_sdwa v16, v52, s4 dst_sel:DWORD dst_unused:UNUSED_PAD src0_sel:BYTE_0 src1_sel:DWORD
	v_lshrrev_b16_e32 v16, 10, v16
	v_mul_lo_u16_e32 v16, 13, v16
	v_sub_u16_e32 v47, v52, v16
	v_lshlrev_b16_e32 v16, 2, v47
	v_and_b32_e32 v16, 0xfc, v16
	v_lshlrev_b32_e32 v24, 3, v16
	v_add_co_u32_e64 v60, s[0:1], 52, v153
	global_load_dwordx4 v[20:23], v24, s[2:3]
	global_load_dwordx4 v[16:19], v24, s[2:3] offset:16
	v_mul_lo_u16_sdwa v24, v60, s4 dst_sel:DWORD dst_unused:UNUSED_PAD src0_sel:BYTE_0 src1_sel:DWORD
	v_lshrrev_b16_e32 v24, 10, v24
	v_mul_lo_u16_e32 v24, 13, v24
	v_sub_u16_e32 v48, v60, v24
	v_lshlrev_b16_e32 v24, 2, v48
	v_and_b32_e32 v24, 0xfc, v24
	v_lshlrev_b32_e32 v32, 3, v24
	global_load_dwordx4 v[28:31], v32, s[2:3]
	global_load_dwordx4 v[24:27], v32, s[2:3] offset:16
	ds_read2_b64 v[40:43], v154 offset1:13
	ds_read2_b64 v[32:35], v154 offset0:52 offset1:65
	ds_read2_b64 v[55:58], v154 offset0:130 offset1:143
	;; [unrolled: 1-line block ×3, first 2 shown]
	v_add_u32_e32 v99, 0x800, v154
	ds_read2_b64 v[65:68], v154 offset0:78 offset1:91
	ds_read2_b64 v[69:72], v154 offset0:208 offset1:221
	;; [unrolled: 1-line block ×6, first 2 shown]
	ds_read_b64 v[49:50], v154 offset:2496
	ds_read2_b64 v[85:88], v99 offset0:4 offset1:17
	ds_read2_b64 v[89:92], v99 offset0:30 offset1:43
	s_waitcnt lgkmcnt(0)
	; wave barrier
	s_waitcnt lgkmcnt(0)
	s_add_u32 s0, s14, 0xa28
	s_addc_u32 s1, s15, 0
	s_waitcnt vmcnt(7)
	v_mul_f32_e32 v51, v35, v5
	v_mul_f32_e32 v53, v34, v5
	s_waitcnt vmcnt(6)
	v_mul_f32_e32 v107, v87, v3
	v_fma_f32 v51, v34, v4, -v51
	s_waitcnt vmcnt(5)
	v_mul_f32_e32 v34, v68, v13
	v_mul_f32_e32 v93, v55, v7
	;; [unrolled: 1-line block ×5, first 2 shown]
	v_fmac_f32_e32 v107, v88, v2
	v_fma_f32 v88, v67, v12, -v34
	s_waitcnt vmcnt(4)
	v_mul_f32_e32 v34, v72, v9
	v_mul_f32_e32 v59, v56, v7
	;; [unrolled: 1-line block ×3, first 2 shown]
	v_fmac_f32_e32 v93, v56, v6
	v_fma_f32 v56, v85, v2, -v96
	v_fma_f32 v85, v65, v4, -v100
	v_mul_f32_e32 v96, v73, v15
	v_fma_f32 v100, v71, v8, -v34
	v_mul_f32_e32 v34, v90, v11
	v_fmac_f32_e32 v53, v35, v4
	v_mul_f32_e32 v35, v74, v15
	v_fmac_f32_e32 v96, v74, v14
	v_fma_f32 v74, v89, v10, -v34
	v_mul_f32_e32 v89, v89, v11
	s_waitcnt vmcnt(3)
	v_mul_f32_e32 v34, v78, v21
	v_mul_f32_e32 v101, v65, v5
	v_fmac_f32_e32 v89, v90, v10
	v_fma_f32 v90, v77, v20, -v34
	v_mul_f32_e32 v34, v76, v23
	v_fmac_f32_e32 v101, v66, v4
	v_fma_f32 v66, v87, v2, -v106
	v_fma_f32 v106, v75, v22, -v34
	s_waitcnt vmcnt(2)
	v_mul_f32_e32 v34, v82, v17
	v_fma_f32 v109, v81, v16, -v34
	v_mul_f32_e32 v110, v81, v17
	v_mul_f32_e32 v34, v92, v19
	v_fmac_f32_e32 v110, v82, v16
	v_fma_f32 v82, v91, v18, -v34
	v_mul_f32_e32 v91, v91, v19
	s_waitcnt vmcnt(1)
	v_mul_f32_e32 v34, v80, v29
	v_mul_f32_e32 v94, v64, v1
	v_fmac_f32_e32 v91, v92, v18
	v_fma_f32 v92, v79, v28, -v34
	v_mul_f32_e32 v34, v62, v31
	v_mul_f32_e32 v95, v63, v1
	v_fma_f32 v59, v55, v6, -v59
	v_fma_f32 v63, v63, v0, -v94
	;; [unrolled: 1-line block ×3, first 2 shown]
	s_waitcnt vmcnt(0)
	v_mul_f32_e32 v34, v84, v25
	v_fma_f32 v94, v73, v14, -v35
	v_fma_f32 v114, v83, v24, -v34
	v_mul_f32_e32 v34, v50, v27
	v_add_f32_e32 v35, v59, v63
	v_fmac_f32_e32 v97, v86, v2
	v_fma_f32 v116, v49, v26, -v34
	v_mul_f32_e32 v117, v49, v27
	v_fma_f32 v49, -0.5, v35, v40
	v_mul_f32_e32 v102, v58, v7
	v_mul_f32_e32 v103, v57, v7
	v_fmac_f32_e32 v95, v64, v0
	v_sub_f32_e32 v35, v53, v97
	v_mov_b32_e32 v55, v49
	v_fma_f32 v86, v57, v6, -v102
	v_fmac_f32_e32 v103, v58, v6
	v_fmac_f32_e32 v117, v50, v26
	v_fmac_f32_e32 v55, 0x3f737871, v35
	v_sub_f32_e32 v50, v93, v95
	v_sub_f32_e32 v57, v51, v59
	;; [unrolled: 1-line block ×3, first 2 shown]
	v_fmac_f32_e32 v49, 0xbf737871, v35
	v_fmac_f32_e32 v55, 0x3f167918, v50
	v_add_f32_e32 v57, v57, v58
	v_fmac_f32_e32 v49, 0xbf167918, v50
	v_fmac_f32_e32 v55, 0x3e9e377a, v57
	;; [unrolled: 1-line block ×3, first 2 shown]
	v_add_f32_e32 v57, v51, v56
	v_add_f32_e32 v34, v40, v51
	v_fma_f32 v40, -0.5, v57, v40
	v_mov_b32_e32 v57, v40
	v_add_f32_e32 v34, v34, v59
	v_fmac_f32_e32 v57, 0xbf737871, v50
	v_fmac_f32_e32 v40, 0x3f737871, v50
	v_add_f32_e32 v50, v93, v95
	v_mul_f32_e32 v113, v61, v31
	v_add_f32_e32 v34, v34, v63
	v_sub_f32_e32 v58, v59, v51
	v_sub_f32_e32 v61, v63, v56
	v_fma_f32 v50, -0.5, v50, v41
	v_add_f32_e32 v34, v34, v56
	v_fmac_f32_e32 v57, 0x3f167918, v35
	v_add_f32_e32 v58, v58, v61
	v_fmac_f32_e32 v40, 0xbf167918, v35
	v_sub_f32_e32 v51, v51, v56
	v_mov_b32_e32 v56, v50
	v_fmac_f32_e32 v57, 0x3e9e377a, v58
	v_fmac_f32_e32 v40, 0x3e9e377a, v58
	;; [unrolled: 1-line block ×3, first 2 shown]
	v_sub_f32_e32 v59, v59, v63
	v_sub_f32_e32 v58, v53, v93
	;; [unrolled: 1-line block ×3, first 2 shown]
	v_fmac_f32_e32 v50, 0x3f737871, v51
	v_fmac_f32_e32 v56, 0xbf167918, v59
	v_add_f32_e32 v58, v58, v61
	v_fmac_f32_e32 v50, 0x3f167918, v59
	v_fmac_f32_e32 v56, 0x3e9e377a, v58
	;; [unrolled: 1-line block ×3, first 2 shown]
	v_add_f32_e32 v58, v53, v97
	v_add_f32_e32 v35, v41, v53
	v_fma_f32 v41, -0.5, v58, v41
	v_mov_b32_e32 v58, v41
	v_fmac_f32_e32 v58, 0x3f737871, v59
	v_fmac_f32_e32 v41, 0xbf737871, v59
	v_mul_f32_e32 v104, v70, v1
	v_fmac_f32_e32 v58, 0xbf167918, v51
	v_fmac_f32_e32 v41, 0x3f167918, v51
	v_add_f32_e32 v51, v42, v85
	v_mul_f32_e32 v105, v69, v1
	v_fma_f32 v69, v69, v0, -v104
	v_add_f32_e32 v51, v51, v86
	v_sub_f32_e32 v53, v93, v53
	v_sub_f32_e32 v61, v95, v97
	v_add_f32_e32 v51, v51, v69
	v_add_f32_e32 v53, v53, v61
	v_add_f32_e32 v61, v51, v66
	v_add_f32_e32 v51, v86, v69
	v_fma_f32 v63, -0.5, v51, v42
	v_fmac_f32_e32 v105, v70, v0
	v_sub_f32_e32 v51, v101, v107
	v_mov_b32_e32 v65, v63
	v_fmac_f32_e32 v113, v62, v30
	v_fmac_f32_e32 v58, 0x3e9e377a, v53
	;; [unrolled: 1-line block ×4, first 2 shown]
	v_sub_f32_e32 v53, v103, v105
	v_sub_f32_e32 v59, v85, v86
	;; [unrolled: 1-line block ×3, first 2 shown]
	v_fmac_f32_e32 v63, 0xbf737871, v51
	v_fmac_f32_e32 v65, 0x3f167918, v53
	v_add_f32_e32 v59, v59, v62
	v_fmac_f32_e32 v63, 0xbf167918, v53
	v_fmac_f32_e32 v65, 0x3e9e377a, v59
	;; [unrolled: 1-line block ×3, first 2 shown]
	v_add_f32_e32 v59, v85, v66
	v_fma_f32 v42, -0.5, v59, v42
	v_mul_f32_e32 v87, v67, v13
	v_mov_b32_e32 v67, v42
	v_fmac_f32_e32 v67, 0xbf737871, v53
	v_fmac_f32_e32 v42, 0x3f737871, v53
	;; [unrolled: 1-line block ×4, first 2 shown]
	v_add_f32_e32 v51, v43, v101
	v_add_f32_e32 v51, v51, v103
	v_sub_f32_e32 v59, v86, v85
	v_sub_f32_e32 v62, v69, v66
	v_add_f32_e32 v51, v51, v105
	v_add_f32_e32 v59, v59, v62
	;; [unrolled: 1-line block ×4, first 2 shown]
	v_fma_f32 v64, -0.5, v51, v43
	v_sub_f32_e32 v51, v85, v66
	v_mov_b32_e32 v66, v64
	v_fmac_f32_e32 v87, v68, v12
	v_fmac_f32_e32 v67, 0x3e9e377a, v59
	v_fmac_f32_e32 v42, 0x3e9e377a, v59
	v_fmac_f32_e32 v66, 0xbf737871, v51
	v_sub_f32_e32 v53, v86, v69
	v_sub_f32_e32 v59, v101, v103
	;; [unrolled: 1-line block ×3, first 2 shown]
	v_fmac_f32_e32 v64, 0x3f737871, v51
	v_fmac_f32_e32 v66, 0xbf167918, v53
	v_add_f32_e32 v59, v59, v68
	v_fmac_f32_e32 v64, 0x3f167918, v53
	v_fmac_f32_e32 v66, 0x3e9e377a, v59
	;; [unrolled: 1-line block ×3, first 2 shown]
	v_add_f32_e32 v59, v101, v107
	v_fmac_f32_e32 v43, -0.5, v59
	v_mov_b32_e32 v68, v43
	v_fmac_f32_e32 v68, 0x3f737871, v53
	v_fmac_f32_e32 v43, 0xbf737871, v53
	;; [unrolled: 1-line block ×4, first 2 shown]
	v_add_f32_e32 v51, v36, v88
	v_add_f32_e32 v51, v51, v94
	v_sub_f32_e32 v59, v103, v101
	v_sub_f32_e32 v69, v105, v107
	v_add_f32_e32 v51, v51, v100
	v_add_f32_e32 v59, v59, v69
	v_add_f32_e32 v69, v51, v74
	v_add_f32_e32 v51, v94, v100
	v_mul_f32_e32 v102, v71, v9
	v_fma_f32 v71, -0.5, v51, v36
	v_fmac_f32_e32 v102, v72, v8
	v_sub_f32_e32 v51, v87, v89
	v_mov_b32_e32 v73, v71
	v_fmac_f32_e32 v68, 0x3e9e377a, v59
	v_fmac_f32_e32 v43, 0x3e9e377a, v59
	;; [unrolled: 1-line block ×3, first 2 shown]
	v_sub_f32_e32 v53, v96, v102
	v_sub_f32_e32 v59, v88, v94
	;; [unrolled: 1-line block ×3, first 2 shown]
	v_fmac_f32_e32 v71, 0xbf737871, v51
	v_fmac_f32_e32 v73, 0x3f167918, v53
	v_add_f32_e32 v59, v59, v70
	v_fmac_f32_e32 v71, 0xbf167918, v53
	v_fmac_f32_e32 v73, 0x3e9e377a, v59
	;; [unrolled: 1-line block ×3, first 2 shown]
	v_add_f32_e32 v59, v88, v74
	v_fma_f32 v36, -0.5, v59, v36
	v_mul_f32_e32 v108, v75, v23
	v_mov_b32_e32 v75, v36
	v_fmac_f32_e32 v75, 0xbf737871, v53
	v_fmac_f32_e32 v36, 0x3f737871, v53
	;; [unrolled: 1-line block ×4, first 2 shown]
	v_add_f32_e32 v51, v37, v87
	v_add_f32_e32 v51, v51, v96
	v_sub_f32_e32 v59, v94, v88
	v_sub_f32_e32 v70, v100, v74
	v_add_f32_e32 v51, v51, v102
	v_add_f32_e32 v59, v59, v70
	;; [unrolled: 1-line block ×4, first 2 shown]
	v_fma_f32 v72, -0.5, v51, v37
	v_sub_f32_e32 v51, v88, v74
	v_mov_b32_e32 v74, v72
	v_fmac_f32_e32 v108, v76, v22
	v_fmac_f32_e32 v75, 0x3e9e377a, v59
	v_fmac_f32_e32 v36, 0x3e9e377a, v59
	v_fmac_f32_e32 v74, 0xbf737871, v51
	v_sub_f32_e32 v53, v94, v100
	v_sub_f32_e32 v59, v87, v96
	;; [unrolled: 1-line block ×3, first 2 shown]
	v_fmac_f32_e32 v72, 0x3f737871, v51
	v_fmac_f32_e32 v74, 0xbf167918, v53
	v_add_f32_e32 v59, v59, v76
	v_fmac_f32_e32 v72, 0x3f167918, v53
	v_fmac_f32_e32 v74, 0x3e9e377a, v59
	;; [unrolled: 1-line block ×3, first 2 shown]
	v_add_f32_e32 v59, v87, v89
	v_fma_f32 v37, -0.5, v59, v37
	v_mov_b32_e32 v76, v37
	v_fmac_f32_e32 v76, 0x3f737871, v53
	v_fmac_f32_e32 v37, 0xbf737871, v53
	;; [unrolled: 1-line block ×4, first 2 shown]
	v_add_f32_e32 v51, v38, v90
	v_add_f32_e32 v51, v51, v106
	v_mul_f32_e32 v104, v77, v21
	v_sub_f32_e32 v59, v96, v87
	v_sub_f32_e32 v77, v102, v89
	v_add_f32_e32 v51, v51, v109
	v_add_f32_e32 v59, v59, v77
	;; [unrolled: 1-line block ×4, first 2 shown]
	v_fmac_f32_e32 v104, v78, v20
	v_mul_f32_e32 v111, v79, v29
	v_fma_f32 v79, -0.5, v51, v38
	v_sub_f32_e32 v51, v104, v91
	v_mov_b32_e32 v81, v79
	v_fmac_f32_e32 v76, 0x3e9e377a, v59
	v_fmac_f32_e32 v37, 0x3e9e377a, v59
	;; [unrolled: 1-line block ×3, first 2 shown]
	v_sub_f32_e32 v53, v108, v110
	v_sub_f32_e32 v59, v90, v106
	;; [unrolled: 1-line block ×3, first 2 shown]
	v_fmac_f32_e32 v79, 0xbf737871, v51
	v_fmac_f32_e32 v81, 0x3f167918, v53
	v_add_f32_e32 v59, v59, v78
	v_fmac_f32_e32 v79, 0xbf167918, v53
	v_fmac_f32_e32 v81, 0x3e9e377a, v59
	;; [unrolled: 1-line block ×3, first 2 shown]
	v_add_f32_e32 v59, v90, v82
	v_fma_f32 v38, -0.5, v59, v38
	v_mul_f32_e32 v115, v83, v25
	v_mov_b32_e32 v83, v38
	v_fmac_f32_e32 v83, 0xbf737871, v53
	v_fmac_f32_e32 v38, 0x3f737871, v53
	v_fmac_f32_e32 v83, 0x3f167918, v51
	v_fmac_f32_e32 v38, 0xbf167918, v51
	v_add_f32_e32 v51, v39, v104
	v_add_f32_e32 v51, v51, v108
	v_sub_f32_e32 v59, v106, v90
	v_sub_f32_e32 v78, v109, v82
	v_add_f32_e32 v51, v51, v110
	v_add_f32_e32 v59, v59, v78
	;; [unrolled: 1-line block ×4, first 2 shown]
	v_fmac_f32_e32 v111, v80, v28
	v_fma_f32 v80, -0.5, v51, v39
	v_sub_f32_e32 v51, v90, v82
	v_mov_b32_e32 v82, v80
	v_fmac_f32_e32 v115, v84, v24
	v_fmac_f32_e32 v83, 0x3e9e377a, v59
	;; [unrolled: 1-line block ×4, first 2 shown]
	v_sub_f32_e32 v53, v106, v109
	v_sub_f32_e32 v59, v104, v108
	;; [unrolled: 1-line block ×3, first 2 shown]
	v_fmac_f32_e32 v80, 0x3f737871, v51
	v_fmac_f32_e32 v82, 0xbf167918, v53
	v_add_f32_e32 v59, v59, v84
	v_fmac_f32_e32 v80, 0x3f167918, v53
	v_fmac_f32_e32 v82, 0x3e9e377a, v59
	;; [unrolled: 1-line block ×3, first 2 shown]
	v_add_f32_e32 v59, v104, v91
	v_fmac_f32_e32 v39, -0.5, v59
	v_mov_b32_e32 v84, v39
	v_fmac_f32_e32 v84, 0x3f737871, v53
	v_fmac_f32_e32 v39, 0xbf737871, v53
	;; [unrolled: 1-line block ×4, first 2 shown]
	v_add_f32_e32 v51, v32, v92
	v_add_f32_e32 v51, v51, v112
	v_sub_f32_e32 v59, v108, v104
	v_sub_f32_e32 v85, v110, v91
	v_add_f32_e32 v51, v51, v114
	v_add_f32_e32 v59, v59, v85
	;; [unrolled: 1-line block ×4, first 2 shown]
	v_fma_f32 v87, -0.5, v51, v32
	v_sub_f32_e32 v51, v111, v117
	v_mov_b32_e32 v89, v87
	v_fmac_f32_e32 v84, 0x3e9e377a, v59
	v_fmac_f32_e32 v39, 0x3e9e377a, v59
	;; [unrolled: 1-line block ×3, first 2 shown]
	v_sub_f32_e32 v53, v113, v115
	v_sub_f32_e32 v59, v92, v112
	;; [unrolled: 1-line block ×3, first 2 shown]
	v_fmac_f32_e32 v87, 0xbf737871, v51
	v_fmac_f32_e32 v89, 0x3f167918, v53
	v_add_f32_e32 v59, v59, v86
	v_fmac_f32_e32 v87, 0xbf167918, v53
	v_fmac_f32_e32 v89, 0x3e9e377a, v59
	v_fmac_f32_e32 v87, 0x3e9e377a, v59
	v_add_f32_e32 v59, v92, v116
	v_fma_f32 v32, -0.5, v59, v32
	v_mov_b32_e32 v91, v32
	v_fmac_f32_e32 v91, 0xbf737871, v53
	v_fmac_f32_e32 v32, 0x3f737871, v53
	;; [unrolled: 1-line block ×4, first 2 shown]
	v_add_f32_e32 v51, v33, v111
	v_add_f32_e32 v51, v51, v113
	v_sub_f32_e32 v59, v112, v92
	v_sub_f32_e32 v86, v114, v116
	v_add_f32_e32 v51, v51, v115
	v_add_f32_e32 v59, v59, v86
	;; [unrolled: 1-line block ×4, first 2 shown]
	v_fma_f32 v88, -0.5, v51, v33
	v_add_f32_e32 v35, v35, v93
	v_sub_f32_e32 v51, v92, v116
	v_mov_b32_e32 v90, v88
	v_add_f32_e32 v35, v35, v95
	v_fmac_f32_e32 v91, 0x3e9e377a, v59
	v_fmac_f32_e32 v32, 0x3e9e377a, v59
	;; [unrolled: 1-line block ×3, first 2 shown]
	v_sub_f32_e32 v53, v112, v114
	v_sub_f32_e32 v59, v111, v113
	;; [unrolled: 1-line block ×3, first 2 shown]
	v_fmac_f32_e32 v88, 0x3f737871, v51
	v_add_f32_e32 v35, v35, v97
	v_fmac_f32_e32 v90, 0xbf167918, v53
	v_add_f32_e32 v59, v59, v92
	v_fmac_f32_e32 v88, 0x3f167918, v53
	v_fmac_f32_e32 v90, 0x3e9e377a, v59
	;; [unrolled: 1-line block ×3, first 2 shown]
	v_add_f32_e32 v59, v111, v117
	ds_write2_b64 v154, v[34:35], v[55:56] offset1:13
	ds_write2_b64 v154, v[57:58], v[40:41] offset0:26 offset1:39
	ds_write2_b64 v154, v[49:50], v[61:62] offset0:52 offset1:65
	;; [unrolled: 1-line block ×4, first 2 shown]
	v_and_b32_e32 v34, 0xff, v46
	v_fmac_f32_e32 v33, -0.5, v59
	v_lshl_add_u32 v159, v34, 3, v155
	v_and_b32_e32 v34, 0xff, v47
	v_mov_b32_e32 v92, v33
	v_sub_f32_e32 v59, v113, v111
	v_sub_f32_e32 v93, v115, v117
	v_fmac_f32_e32 v33, 0xbf737871, v53
	v_lshl_add_u32 v160, v34, 3, v155
	v_and_b32_e32 v34, 0xff, v48
	v_fmac_f32_e32 v92, 0x3f737871, v53
	v_add_f32_e32 v59, v59, v93
	v_fmac_f32_e32 v33, 0x3f167918, v51
	v_lshl_add_u32 v161, v34, 3, v155
	v_fmac_f32_e32 v92, 0xbf167918, v51
	v_fmac_f32_e32 v33, 0x3e9e377a, v59
	v_add_u32_e32 v34, 0x800, v161
	v_fmac_f32_e32 v92, 0x3e9e377a, v59
	ds_write2_b64 v159, v[69:70], v[73:74] offset0:130 offset1:143
	ds_write2_b64 v159, v[75:76], v[36:37] offset0:156 offset1:169
	ds_write_b64 v159, v[71:72] offset:1456
	ds_write2_b64 v160, v[77:78], v[81:82] offset0:195 offset1:208
	ds_write2_b64 v160, v[83:84], v[38:39] offset0:221 offset1:234
	ds_write_b64 v160, v[79:80] offset:1976
	;; [unrolled: 3-line block ×3, first 2 shown]
	s_waitcnt lgkmcnt(0)
	; wave barrier
	s_waitcnt lgkmcnt(0)
	global_load_dwordx4 v[40:43], v45, s[2:3] offset:416
	global_load_dwordx4 v[32:35], v45, s[2:3] offset:432
	v_lshlrev_b32_e32 v45, 5, v54
	global_load_dwordx4 v[48:51], v45, s[2:3] offset:416
	global_load_dwordx4 v[36:39], v45, s[2:3] offset:432
	v_lshlrev_b32_e32 v53, 5, v44
	;; [unrolled: 3-line block ×4, first 2 shown]
	global_load_dwordx4 v[68:71], v72, s[2:3] offset:416
	global_load_dwordx4 v[60:63], v72, s[2:3] offset:432
	ds_read2_b64 v[94:97], v154 offset1:13
	ds_read2_b64 v[76:79], v154 offset0:52 offset1:65
	ds_read2_b64 v[80:83], v154 offset0:130 offset1:143
	;; [unrolled: 1-line block ×11, first 2 shown]
	ds_read_b64 v[92:93], v154 offset:2496
	s_waitcnt vmcnt(9) lgkmcnt(11)
	v_mul_f32_e32 v151, v79, v41
	v_fma_f32 v151, v78, v40, -v151
	v_mul_f32_e32 v78, v78, v41
	v_fmac_f32_e32 v78, v79, v40
	s_waitcnt lgkmcnt(10)
	v_mul_f32_e32 v79, v81, v43
	v_fma_f32 v79, v80, v42, -v79
	v_mul_f32_e32 v80, v80, v43
	v_fmac_f32_e32 v80, v81, v42
	s_waitcnt vmcnt(8) lgkmcnt(9)
	v_mul_f32_e32 v81, v87, v33
	v_fma_f32 v81, v86, v32, -v81
	v_mul_f32_e32 v86, v86, v33
	v_fmac_f32_e32 v86, v87, v32
	s_waitcnt lgkmcnt(8)
	v_mul_f32_e32 v87, v89, v35
	v_fma_f32 v87, v88, v34, -v87
	v_mul_f32_e32 v88, v88, v35
	v_fmac_f32_e32 v88, v89, v34
	s_waitcnt vmcnt(7) lgkmcnt(7)
	v_mul_f32_e32 v89, v101, v49
	v_fma_f32 v89, v100, v48, -v89
	v_mul_f32_e32 v152, v100, v49
	v_mul_f32_e32 v100, v83, v51
	v_fma_f32 v157, v82, v50, -v100
	s_waitcnt vmcnt(6)
	v_mul_f32_e32 v100, v91, v39
	v_fma_f32 v167, v90, v38, -v100
	s_waitcnt vmcnt(5) lgkmcnt(4)
	v_mul_f32_e32 v100, v109, v59
	v_fma_f32 v169, v108, v58, -v100
	s_waitcnt vmcnt(4)
	v_mul_f32_e32 v100, v107, v45
	v_fma_f32 v171, v106, v44, -v100
	s_waitcnt lgkmcnt(3)
	v_mul_f32_e32 v100, v113, v47
	v_fma_f32 v173, v112, v46, -v100
	s_waitcnt vmcnt(3) lgkmcnt(2)
	v_mul_f32_e32 v100, v117, v65
	v_fma_f32 v175, v116, v64, -v100
	v_mul_f32_e32 v100, v111, v67
	v_fma_f32 v177, v110, v66, -v100
	s_waitcnt vmcnt(2) lgkmcnt(1)
	v_mul_f32_e32 v100, v163, v53
	v_fma_f32 v179, v162, v52, -v100
	v_mul_f32_e32 v100, v115, v55
	v_fma_f32 v181, v114, v54, -v100
	s_waitcnt vmcnt(1)
	v_mul_f32_e32 v100, v119, v69
	v_fma_f32 v183, v118, v68, -v100
	v_mul_f32_e32 v100, v85, v71
	v_fma_f32 v185, v84, v70, -v100
	v_mul_f32_e32 v186, v84, v71
	s_waitcnt vmcnt(0)
	v_mul_f32_e32 v84, v165, v61
	v_fma_f32 v187, v164, v60, -v84
	v_mul_f32_e32 v164, v164, v61
	s_waitcnt lgkmcnt(0)
	v_mul_f32_e32 v84, v93, v63
	v_fmac_f32_e32 v164, v165, v60
	v_fma_f32 v165, v92, v62, -v84
	v_add_f32_e32 v84, v94, v151
	v_add_f32_e32 v84, v84, v79
	v_mul_f32_e32 v90, v90, v39
	v_add_f32_e32 v84, v84, v81
	v_mul_f32_e32 v82, v82, v51
	v_fmac_f32_e32 v90, v91, v38
	v_mul_f32_e32 v91, v103, v57
	v_add_f32_e32 v100, v84, v87
	v_add_f32_e32 v84, v79, v81
	v_fmac_f32_e32 v82, v83, v50
	v_mul_f32_e32 v83, v105, v37
	v_fma_f32 v91, v102, v56, -v91
	v_mul_f32_e32 v168, v102, v57
	v_fma_f32 v102, -0.5, v84, v94
	v_fma_f32 v83, v104, v36, -v83
	v_mul_f32_e32 v166, v104, v37
	v_mul_f32_e32 v188, v92, v63
	v_sub_f32_e32 v84, v78, v88
	v_mov_b32_e32 v104, v102
	v_fmac_f32_e32 v186, v85, v70
	v_fmac_f32_e32 v188, v93, v62
	;; [unrolled: 1-line block ×3, first 2 shown]
	v_sub_f32_e32 v85, v80, v86
	v_sub_f32_e32 v92, v151, v79
	v_sub_f32_e32 v93, v87, v81
	v_fmac_f32_e32 v102, 0xbf737871, v84
	v_fmac_f32_e32 v104, 0x3f167918, v85
	v_add_f32_e32 v92, v92, v93
	v_fmac_f32_e32 v102, 0xbf167918, v85
	v_fmac_f32_e32 v104, 0x3e9e377a, v92
	;; [unrolled: 1-line block ×3, first 2 shown]
	v_add_f32_e32 v92, v151, v87
	v_mul_f32_e32 v172, v106, v45
	v_fma_f32 v106, -0.5, v92, v94
	v_mul_f32_e32 v170, v108, v59
	v_mov_b32_e32 v108, v106
	v_fmac_f32_e32 v108, 0xbf737871, v85
	v_fmac_f32_e32 v106, 0x3f737871, v85
	;; [unrolled: 1-line block ×4, first 2 shown]
	v_add_f32_e32 v84, v95, v78
	v_add_f32_e32 v84, v84, v80
	;; [unrolled: 1-line block ×3, first 2 shown]
	v_fmac_f32_e32 v152, v101, v48
	v_add_f32_e32 v101, v84, v88
	v_add_f32_e32 v84, v80, v86
	v_fmac_f32_e32 v168, v103, v56
	v_fma_f32 v103, -0.5, v84, v95
	v_fmac_f32_e32 v166, v105, v36
	v_sub_f32_e32 v84, v151, v87
	v_mov_b32_e32 v105, v103
	v_sub_f32_e32 v92, v79, v151
	v_sub_f32_e32 v93, v81, v87
	v_fmac_f32_e32 v105, 0xbf737871, v84
	v_sub_f32_e32 v79, v79, v81
	v_sub_f32_e32 v81, v78, v80
	;; [unrolled: 1-line block ×3, first 2 shown]
	v_fmac_f32_e32 v103, 0x3f737871, v84
	v_fmac_f32_e32 v105, 0xbf167918, v79
	v_add_f32_e32 v81, v81, v85
	v_fmac_f32_e32 v103, 0x3f167918, v79
	v_fmac_f32_e32 v105, 0x3e9e377a, v81
	;; [unrolled: 1-line block ×3, first 2 shown]
	v_add_f32_e32 v81, v78, v88
	v_fmac_f32_e32 v172, v107, v44
	v_fma_f32 v107, -0.5, v81, v95
	v_fmac_f32_e32 v170, v109, v58
	v_mov_b32_e32 v109, v107
	v_fmac_f32_e32 v109, 0x3f737871, v79
	v_sub_f32_e32 v78, v80, v78
	v_sub_f32_e32 v80, v86, v88
	v_fmac_f32_e32 v107, 0xbf737871, v79
	v_fmac_f32_e32 v109, 0xbf167918, v84
	v_add_f32_e32 v78, v78, v80
	v_fmac_f32_e32 v107, 0x3f167918, v84
	v_fmac_f32_e32 v109, 0x3e9e377a, v78
	;; [unrolled: 1-line block ×3, first 2 shown]
	v_add_f32_e32 v78, v96, v89
	v_add_f32_e32 v78, v78, v157
	;; [unrolled: 1-line block ×3, first 2 shown]
	v_mul_f32_e32 v178, v110, v67
	v_add_f32_e32 v110, v78, v167
	v_add_f32_e32 v78, v157, v83
	v_mul_f32_e32 v174, v112, v47
	v_fma_f32 v112, -0.5, v78, v96
	v_mul_f32_e32 v182, v114, v55
	v_sub_f32_e32 v78, v152, v90
	v_mov_b32_e32 v114, v112
	v_fmac_f32_e32 v114, 0x3f737871, v78
	v_sub_f32_e32 v79, v82, v166
	v_sub_f32_e32 v80, v89, v157
	;; [unrolled: 1-line block ×3, first 2 shown]
	v_fmac_f32_e32 v112, 0xbf737871, v78
	v_fmac_f32_e32 v114, 0x3f167918, v79
	v_add_f32_e32 v80, v80, v81
	v_fmac_f32_e32 v112, 0xbf167918, v79
	v_fmac_f32_e32 v114, 0x3e9e377a, v80
	;; [unrolled: 1-line block ×3, first 2 shown]
	v_add_f32_e32 v80, v89, v167
	v_fma_f32 v96, -0.5, v80, v96
	v_mul_f32_e32 v176, v116, v65
	v_mov_b32_e32 v116, v96
	v_fmac_f32_e32 v116, 0xbf737871, v79
	v_fmac_f32_e32 v96, 0x3f737871, v79
	;; [unrolled: 1-line block ×4, first 2 shown]
	v_add_f32_e32 v78, v97, v152
	v_add_f32_e32 v78, v78, v82
	v_add_f32_e32 v78, v78, v166
	v_fmac_f32_e32 v178, v111, v66
	v_add_f32_e32 v111, v78, v90
	v_add_f32_e32 v78, v82, v166
	v_fmac_f32_e32 v174, v113, v46
	v_sub_f32_e32 v80, v157, v89
	v_sub_f32_e32 v81, v83, v167
	v_fma_f32 v113, -0.5, v78, v97
	v_fmac_f32_e32 v182, v115, v54
	v_add_f32_e32 v80, v80, v81
	v_sub_f32_e32 v78, v89, v167
	v_mov_b32_e32 v115, v113
	v_fmac_f32_e32 v116, 0x3e9e377a, v80
	v_fmac_f32_e32 v96, 0x3e9e377a, v80
	v_fmac_f32_e32 v115, 0xbf737871, v78
	v_sub_f32_e32 v79, v157, v83
	v_sub_f32_e32 v80, v152, v82
	;; [unrolled: 1-line block ×3, first 2 shown]
	v_fmac_f32_e32 v113, 0x3f737871, v78
	v_fmac_f32_e32 v115, 0xbf167918, v79
	v_add_f32_e32 v80, v80, v81
	v_fmac_f32_e32 v113, 0x3f167918, v79
	v_fmac_f32_e32 v115, 0x3e9e377a, v80
	;; [unrolled: 1-line block ×3, first 2 shown]
	v_add_f32_e32 v80, v152, v90
	v_fmac_f32_e32 v97, -0.5, v80
	v_fmac_f32_e32 v176, v117, v64
	v_mov_b32_e32 v117, v97
	v_fmac_f32_e32 v117, 0x3f737871, v79
	v_fmac_f32_e32 v97, 0xbf737871, v79
	;; [unrolled: 1-line block ×4, first 2 shown]
	v_add_f32_e32 v78, v72, v91
	v_add_f32_e32 v78, v78, v169
	;; [unrolled: 1-line block ×3, first 2 shown]
	v_mul_f32_e32 v184, v118, v69
	v_add_f32_e32 v118, v78, v173
	v_add_f32_e32 v78, v169, v171
	v_sub_f32_e32 v80, v82, v152
	v_sub_f32_e32 v81, v166, v90
	v_fma_f32 v82, -0.5, v78, v72
	v_add_f32_e32 v80, v80, v81
	v_sub_f32_e32 v78, v168, v174
	v_mov_b32_e32 v151, v82
	v_fmac_f32_e32 v117, 0x3e9e377a, v80
	v_fmac_f32_e32 v97, 0x3e9e377a, v80
	;; [unrolled: 1-line block ×3, first 2 shown]
	v_sub_f32_e32 v79, v170, v172
	v_sub_f32_e32 v80, v91, v169
	;; [unrolled: 1-line block ×3, first 2 shown]
	v_fmac_f32_e32 v82, 0xbf737871, v78
	v_fmac_f32_e32 v151, 0x3f167918, v79
	v_add_f32_e32 v80, v80, v81
	v_fmac_f32_e32 v82, 0xbf167918, v79
	v_fmac_f32_e32 v151, 0x3e9e377a, v80
	;; [unrolled: 1-line block ×3, first 2 shown]
	v_add_f32_e32 v80, v91, v173
	v_fma_f32 v80, -0.5, v80, v72
	v_mul_f32_e32 v180, v162, v53
	v_mov_b32_e32 v162, v80
	v_fmac_f32_e32 v162, 0xbf737871, v79
	v_sub_f32_e32 v72, v169, v91
	v_sub_f32_e32 v81, v171, v173
	v_fmac_f32_e32 v80, 0x3f737871, v79
	v_fmac_f32_e32 v162, 0x3f167918, v78
	v_add_f32_e32 v72, v72, v81
	v_fmac_f32_e32 v80, 0xbf167918, v78
	v_fmac_f32_e32 v162, 0x3e9e377a, v72
	v_fmac_f32_e32 v80, 0x3e9e377a, v72
	v_add_f32_e32 v72, v73, v168
	v_add_f32_e32 v72, v72, v170
	;; [unrolled: 1-line block ×3, first 2 shown]
	v_fmac_f32_e32 v184, v119, v68
	v_add_f32_e32 v119, v72, v174
	v_add_f32_e32 v72, v170, v172
	v_fma_f32 v83, -0.5, v72, v73
	v_sub_f32_e32 v72, v91, v173
	v_mov_b32_e32 v152, v83
	v_fmac_f32_e32 v152, 0xbf737871, v72
	v_sub_f32_e32 v78, v169, v171
	v_sub_f32_e32 v79, v168, v170
	;; [unrolled: 1-line block ×3, first 2 shown]
	v_fmac_f32_e32 v83, 0x3f737871, v72
	v_fmac_f32_e32 v152, 0xbf167918, v78
	v_add_f32_e32 v79, v79, v81
	v_fmac_f32_e32 v83, 0x3f167918, v78
	v_fmac_f32_e32 v152, 0x3e9e377a, v79
	;; [unrolled: 1-line block ×3, first 2 shown]
	v_add_f32_e32 v79, v168, v174
	v_fma_f32 v81, -0.5, v79, v73
	v_fmac_f32_e32 v180, v163, v52
	v_mov_b32_e32 v163, v81
	v_fmac_f32_e32 v163, 0x3f737871, v78
	v_fmac_f32_e32 v81, 0xbf737871, v78
	;; [unrolled: 1-line block ×4, first 2 shown]
	v_add_f32_e32 v72, v74, v175
	v_add_f32_e32 v72, v72, v177
	;; [unrolled: 1-line block ×3, first 2 shown]
	v_sub_f32_e32 v73, v170, v168
	v_sub_f32_e32 v79, v172, v174
	v_add_f32_e32 v84, v72, v181
	v_add_f32_e32 v72, v177, v179
	;; [unrolled: 1-line block ×3, first 2 shown]
	v_fma_f32 v88, -0.5, v72, v74
	v_fmac_f32_e32 v163, 0x3e9e377a, v73
	v_fmac_f32_e32 v81, 0x3e9e377a, v73
	v_sub_f32_e32 v73, v176, v182
	v_mov_b32_e32 v86, v88
	v_fmac_f32_e32 v86, 0x3f737871, v73
	v_sub_f32_e32 v78, v178, v180
	v_sub_f32_e32 v72, v175, v177
	;; [unrolled: 1-line block ×3, first 2 shown]
	v_fmac_f32_e32 v88, 0xbf737871, v73
	v_fmac_f32_e32 v86, 0x3f167918, v78
	v_add_f32_e32 v72, v72, v79
	v_fmac_f32_e32 v88, 0xbf167918, v78
	v_fmac_f32_e32 v86, 0x3e9e377a, v72
	;; [unrolled: 1-line block ×3, first 2 shown]
	v_add_f32_e32 v72, v175, v181
	v_fma_f32 v74, -0.5, v72, v74
	v_mov_b32_e32 v72, v74
	v_fmac_f32_e32 v72, 0xbf737871, v78
	v_fmac_f32_e32 v74, 0x3f737871, v78
	;; [unrolled: 1-line block ×4, first 2 shown]
	v_add_f32_e32 v73, v75, v176
	v_add_f32_e32 v73, v73, v178
	v_sub_f32_e32 v79, v177, v175
	v_sub_f32_e32 v85, v179, v181
	v_add_f32_e32 v73, v73, v180
	v_add_f32_e32 v79, v79, v85
	;; [unrolled: 1-line block ×4, first 2 shown]
	v_fma_f32 v89, -0.5, v73, v75
	v_sub_f32_e32 v78, v175, v181
	v_mov_b32_e32 v87, v89
	v_fmac_f32_e32 v72, 0x3e9e377a, v79
	v_fmac_f32_e32 v74, 0x3e9e377a, v79
	;; [unrolled: 1-line block ×3, first 2 shown]
	v_sub_f32_e32 v79, v177, v179
	v_sub_f32_e32 v73, v176, v178
	;; [unrolled: 1-line block ×3, first 2 shown]
	v_fmac_f32_e32 v89, 0x3f737871, v78
	v_fmac_f32_e32 v87, 0xbf167918, v79
	v_add_f32_e32 v73, v73, v90
	v_fmac_f32_e32 v89, 0x3f167918, v79
	v_fmac_f32_e32 v87, 0x3e9e377a, v73
	;; [unrolled: 1-line block ×3, first 2 shown]
	v_add_f32_e32 v73, v176, v182
	v_fmac_f32_e32 v75, -0.5, v73
	v_mov_b32_e32 v73, v75
	v_fmac_f32_e32 v73, 0x3f737871, v79
	v_fmac_f32_e32 v75, 0xbf737871, v79
	;; [unrolled: 1-line block ×4, first 2 shown]
	v_add_f32_e32 v78, v76, v183
	v_sub_f32_e32 v90, v178, v176
	v_sub_f32_e32 v91, v180, v182
	v_add_f32_e32 v78, v78, v185
	v_add_f32_e32 v90, v90, v91
	;; [unrolled: 1-line block ×3, first 2 shown]
	v_fmac_f32_e32 v73, 0x3e9e377a, v90
	v_fmac_f32_e32 v75, 0x3e9e377a, v90
	v_add_f32_e32 v90, v78, v165
	v_add_f32_e32 v78, v185, v187
	;; [unrolled: 1-line block ×3, first 2 shown]
	v_fma_f32 v78, -0.5, v78, v76
	v_fmac_f32_e32 v108, 0x3e9e377a, v92
	v_fmac_f32_e32 v106, 0x3e9e377a, v92
	v_sub_f32_e32 v79, v184, v188
	v_mov_b32_e32 v92, v78
	v_fmac_f32_e32 v92, 0x3f737871, v79
	v_sub_f32_e32 v91, v186, v164
	v_sub_f32_e32 v93, v183, v185
	;; [unrolled: 1-line block ×3, first 2 shown]
	v_fmac_f32_e32 v78, 0xbf737871, v79
	v_fmac_f32_e32 v92, 0x3f167918, v91
	v_add_f32_e32 v93, v93, v94
	v_fmac_f32_e32 v78, 0xbf167918, v91
	v_fmac_f32_e32 v92, 0x3e9e377a, v93
	;; [unrolled: 1-line block ×3, first 2 shown]
	v_add_f32_e32 v93, v183, v165
	v_fma_f32 v76, -0.5, v93, v76
	v_mov_b32_e32 v94, v76
	v_fmac_f32_e32 v94, 0xbf737871, v91
	v_fmac_f32_e32 v76, 0x3f737871, v91
	;; [unrolled: 1-line block ×4, first 2 shown]
	v_add_f32_e32 v79, v77, v184
	v_add_f32_e32 v79, v79, v186
	;; [unrolled: 1-line block ×3, first 2 shown]
	v_sub_f32_e32 v93, v185, v183
	v_sub_f32_e32 v95, v187, v165
	v_add_f32_e32 v91, v79, v188
	v_add_f32_e32 v79, v186, v164
	;; [unrolled: 1-line block ×3, first 2 shown]
	v_fma_f32 v79, -0.5, v79, v77
	v_fmac_f32_e32 v94, 0x3e9e377a, v93
	v_fmac_f32_e32 v76, 0x3e9e377a, v93
	v_sub_f32_e32 v157, v183, v165
	v_mov_b32_e32 v93, v79
	v_fmac_f32_e32 v93, 0xbf737871, v157
	v_sub_f32_e32 v165, v185, v187
	v_sub_f32_e32 v95, v184, v186
	;; [unrolled: 1-line block ×3, first 2 shown]
	v_fmac_f32_e32 v79, 0x3f737871, v157
	v_fmac_f32_e32 v93, 0xbf167918, v165
	v_add_f32_e32 v95, v95, v166
	v_fmac_f32_e32 v79, 0x3f167918, v165
	v_fmac_f32_e32 v93, 0x3e9e377a, v95
	;; [unrolled: 1-line block ×3, first 2 shown]
	v_add_f32_e32 v95, v184, v188
	v_fmac_f32_e32 v77, -0.5, v95
	v_mov_b32_e32 v95, v77
	v_fmac_f32_e32 v95, 0x3f737871, v165
	v_fmac_f32_e32 v77, 0xbf737871, v165
	;; [unrolled: 1-line block ×3, first 2 shown]
	v_sub_f32_e32 v166, v186, v184
	v_sub_f32_e32 v164, v164, v188
	v_fmac_f32_e32 v77, 0x3f167918, v157
	v_lshl_add_u32 v157, v153, 3, v155
	v_add_f32_e32 v164, v166, v164
	ds_write_b64 v154, v[100:101]
	ds_write2_b64 v157, v[104:105], v[114:115] offset0:65 offset1:78
	ds_write2_b64 v157, v[108:109], v[116:117] offset0:130 offset1:143
	;; [unrolled: 1-line block ×3, first 2 shown]
	v_add_u32_e32 v96, 0x800, v157
	v_fmac_f32_e32 v95, 0x3e9e377a, v164
	v_fmac_f32_e32 v77, 0x3e9e377a, v164
	ds_write2_b64 v96, v[102:103], v[112:113] offset0:4 offset1:17
	ds_write2_b64 v157, v[110:111], v[118:119] offset0:13 offset1:26
	;; [unrolled: 1-line block ×8, first 2 shown]
	v_add_u32_e32 v112, 0x400, v154
	ds_write2_b64 v112, v[76:77], v[78:79] offset0:119 offset1:184
	s_waitcnt lgkmcnt(0)
	; wave barrier
	s_waitcnt lgkmcnt(0)
	global_load_dwordx2 v[96:97], v[120:121], off offset:2600
	global_load_dwordx2 v[108:109], v98, s[0:1] offset:200
	global_load_dwordx2 v[110:111], v98, s[0:1] offset:400
	;; [unrolled: 1-line block ×12, first 2 shown]
	ds_read2_b64 v[100:103], v154 offset1:25
	s_waitcnt vmcnt(12) lgkmcnt(0)
	v_mul_f32_e32 v104, v101, v97
	v_fma_f32 v174, v100, v96, -v104
	ds_read2_b64 v[104:107], v154 offset0:50 offset1:75
	v_mul_f32_e32 v175, v100, v97
	v_fmac_f32_e32 v175, v101, v96
	s_waitcnt vmcnt(11)
	v_mul_f32_e32 v96, v103, v109
	v_mul_f32_e32 v97, v102, v109
	v_fma_f32 v96, v102, v108, -v96
	v_fmac_f32_e32 v97, v103, v108
	ds_read2_b64 v[100:103], v154 offset0:100 offset1:125
	ds_write2_b64 v154, v[174:175], v[96:97] offset1:25
	s_waitcnt vmcnt(10) lgkmcnt(2)
	v_mul_f32_e32 v96, v105, v111
	v_mul_f32_e32 v97, v104, v111
	v_fma_f32 v96, v104, v110, -v96
	v_fmac_f32_e32 v97, v105, v110
	s_waitcnt vmcnt(9)
	v_mul_f32_e32 v104, v107, v114
	v_mul_f32_e32 v105, v106, v114
	v_fma_f32 v104, v106, v113, -v104
	v_fmac_f32_e32 v105, v107, v113
	ds_write2_b64 v154, v[96:97], v[104:105] offset0:50 offset1:75
	s_waitcnt vmcnt(8) lgkmcnt(2)
	v_mul_f32_e32 v96, v101, v116
	v_mul_f32_e32 v97, v100, v116
	ds_read2_b64 v[104:107], v154 offset0:150 offset1:175
	v_fma_f32 v96, v100, v115, -v96
	v_fmac_f32_e32 v97, v101, v115
	s_waitcnt vmcnt(7)
	v_mul_f32_e32 v100, v103, v118
	v_mul_f32_e32 v101, v102, v118
	v_fma_f32 v100, v102, v117, -v100
	v_fmac_f32_e32 v101, v103, v117
	ds_write2_b64 v154, v[96:97], v[100:101] offset0:100 offset1:125
	ds_read2_b64 v[100:103], v154 offset0:200 offset1:225
	s_waitcnt vmcnt(6) lgkmcnt(2)
	v_mul_f32_e32 v96, v105, v152
	v_mul_f32_e32 v97, v104, v152
	v_fma_f32 v96, v104, v151, -v96
	v_fmac_f32_e32 v97, v105, v151
	s_waitcnt vmcnt(5)
	v_mul_f32_e32 v104, v107, v163
	v_mul_f32_e32 v105, v106, v163
	v_fma_f32 v104, v106, v162, -v104
	v_fmac_f32_e32 v105, v107, v162
	ds_write2_b64 v154, v[96:97], v[104:105] offset0:150 offset1:175
	s_waitcnt vmcnt(4) lgkmcnt(1)
	v_mul_f32_e32 v96, v101, v165
	v_mul_f32_e32 v97, v100, v165
	v_fma_f32 v96, v100, v164, -v96
	v_fmac_f32_e32 v97, v101, v164
	s_waitcnt vmcnt(3)
	v_mul_f32_e32 v100, v103, v167
	ds_read2_b64 v[104:107], v112 offset0:122 offset1:147
	v_mul_f32_e32 v101, v102, v167
	v_fma_f32 v100, v102, v166, -v100
	v_fmac_f32_e32 v101, v103, v166
	ds_write2_b64 v154, v[96:97], v[100:101] offset0:200 offset1:225
	ds_read_b64 v[100:101], v154 offset:2400
	s_waitcnt vmcnt(2) lgkmcnt(2)
	v_mul_f32_e32 v96, v105, v169
	v_mul_f32_e32 v97, v104, v169
	s_waitcnt vmcnt(1)
	v_mul_f32_e32 v102, v107, v171
	v_mul_f32_e32 v103, v106, v171
	v_fma_f32 v96, v104, v168, -v96
	v_fmac_f32_e32 v97, v105, v168
	v_fma_f32 v102, v106, v170, -v102
	v_fmac_f32_e32 v103, v107, v170
	ds_write2_b64 v112, v[96:97], v[102:103] offset0:122 offset1:147
	s_waitcnt vmcnt(0) lgkmcnt(1)
	v_mul_f32_e32 v96, v101, v173
	v_mul_f32_e32 v97, v100, v173
	v_fma_f32 v96, v100, v172, -v96
	v_fmac_f32_e32 v97, v101, v172
	ds_write_b64 v154, v[96:97] offset:2400
	s_and_saveexec_b64 s[2:3], vcc
	s_cbranch_execz .LBB0_9
; %bb.8:
	v_mov_b32_e32 v97, s1
	v_add_co_u32_e64 v96, s[0:1], s0, v98
	v_addc_co_u32_e64 v97, s[0:1], 0, v97, s[0:1]
	global_load_dwordx2 v[100:101], v[96:97], off offset:104
	global_load_dwordx2 v[117:118], v[96:97], off offset:304
	;; [unrolled: 1-line block ×12, first 2 shown]
	s_nop 0
	global_load_dwordx2 v[96:97], v[96:97], off offset:2504
	ds_read_b64 v[102:103], v157 offset:104
	s_waitcnt vmcnt(12) lgkmcnt(0)
	v_mul_f32_e32 v98, v103, v101
	v_mul_f32_e32 v105, v102, v101
	v_fma_f32 v104, v102, v100, -v98
	v_fmac_f32_e32 v105, v103, v100
	ds_write_b64 v157, v[104:105] offset:104
	ds_read2_b64 v[100:103], v154 offset0:38 offset1:63
	ds_read2_b64 v[104:107], v154 offset0:88 offset1:113
	;; [unrolled: 1-line block ×6, first 2 shown]
	s_waitcnt vmcnt(11) lgkmcnt(5)
	v_mul_f32_e32 v119, v101, v118
	v_mul_f32_e32 v98, v100, v118
	s_waitcnt vmcnt(10)
	v_mul_f32_e32 v188, v103, v152
	v_mul_f32_e32 v118, v102, v152
	s_waitcnt vmcnt(9) lgkmcnt(4)
	v_mul_f32_e32 v189, v105, v171
	v_mul_f32_e32 v152, v104, v171
	s_waitcnt vmcnt(8)
	v_mul_f32_e32 v190, v107, v173
	v_mul_f32_e32 v171, v106, v173
	;; [unrolled: 6-line block ×6, first 2 shown]
	v_fma_f32 v97, v100, v117, -v119
	v_fmac_f32_e32 v98, v101, v117
	v_fma_f32 v117, v102, v151, -v188
	v_fmac_f32_e32 v118, v103, v151
	;; [unrolled: 2-line block ×12, first 2 shown]
	ds_write2_b64 v154, v[97:98], v[117:118] offset0:38 offset1:63
	ds_write2_b64 v154, v[151:152], v[170:171] offset0:88 offset1:113
	;; [unrolled: 1-line block ×6, first 2 shown]
.LBB0_9:
	s_or_b64 exec, exec, s[2:3]
	s_waitcnt lgkmcnt(0)
	; wave barrier
	s_waitcnt lgkmcnt(0)
	ds_read2_b64 v[116:119], v154 offset1:25
	ds_read2_b64 v[108:111], v154 offset0:50 offset1:75
	ds_read2_b64 v[100:103], v154 offset0:100 offset1:125
	ds_read2_b64 v[96:99], v154 offset0:150 offset1:175
	ds_read2_b64 v[104:107], v154 offset0:200 offset1:225
	ds_read2_b64 v[112:115], v112 offset0:122 offset1:147
	ds_read_b64 v[151:152], v154 offset:2400
	s_and_saveexec_b64 s[0:1], vcc
	s_cbranch_execz .LBB0_11
; %bb.10:
	ds_read2_b64 v[80:83], v157 offset0:13 offset1:38
	ds_read2_b64 v[84:87], v157 offset0:63 offset1:88
	;; [unrolled: 1-line block ×5, first 2 shown]
	v_add_u32_e32 v76, 0x800, v157
	ds_read2_b64 v[76:79], v76 offset0:7 offset1:32
	ds_read_b64 v[149:150], v157 offset:2504
.LBB0_11:
	s_or_b64 exec, exec, s[0:1]
	s_waitcnt lgkmcnt(6)
	v_add_f32_e32 v163, v116, v118
	v_add_f32_e32 v164, v117, v119
	s_waitcnt lgkmcnt(5)
	v_add_f32_e32 v163, v163, v108
	v_add_f32_e32 v164, v164, v109
	v_add_f32_e32 v163, v163, v110
	v_add_f32_e32 v164, v164, v111
	s_waitcnt lgkmcnt(4)
	v_add_f32_e32 v163, v163, v100
	v_add_f32_e32 v164, v164, v101
	;; [unrolled: 5-line block ×5, first 2 shown]
	v_add_f32_e32 v163, v163, v114
	s_waitcnt lgkmcnt(0)
	v_add_f32_e32 v166, v152, v119
	v_sub_f32_e32 v119, v119, v152
	v_add_f32_e32 v164, v164, v115
	v_add_f32_e32 v163, v163, v151
	;; [unrolled: 1-line block ×3, first 2 shown]
	v_sub_f32_e32 v118, v118, v151
	v_mul_f32_e32 v151, 0xbeedf032, v119
	v_mul_f32_e32 v169, 0xbf52af12, v119
	;; [unrolled: 1-line block ×6, first 2 shown]
	v_add_f32_e32 v164, v164, v152
	s_mov_b32 s2, 0x3f62ad3f
	v_mov_b32_e32 v152, v151
	s_mov_b32 s3, 0x3f116cb1
	v_mov_b32_e32 v170, v169
	;; [unrolled: 2-line block ×6, first 2 shown]
	v_fmac_f32_e32 v152, 0x3f62ad3f, v165
	v_mul_f32_e32 v167, 0x3f62ad3f, v166
	v_fma_f32 v151, v165, s2, -v151
	v_fmac_f32_e32 v170, 0x3f116cb1, v165
	v_mul_f32_e32 v171, 0x3f116cb1, v166
	v_fma_f32 v169, v165, s3, -v169
	;; [unrolled: 3-line block ×6, first 2 shown]
	v_add_f32_e32 v152, v116, v152
	v_mov_b32_e32 v168, v167
	v_add_f32_e32 v151, v116, v151
	v_add_f32_e32 v170, v116, v170
	v_mov_b32_e32 v172, v171
	v_add_f32_e32 v169, v116, v169
	;; [unrolled: 3-line block ×6, first 2 shown]
	v_add_f32_e32 v119, v115, v109
	v_sub_f32_e32 v109, v109, v115
	v_fmac_f32_e32 v168, 0x3eedf032, v118
	v_fmac_f32_e32 v167, 0xbeedf032, v118
	;; [unrolled: 1-line block ×12, first 2 shown]
	v_add_f32_e32 v118, v114, v108
	v_sub_f32_e32 v108, v108, v114
	v_mul_f32_e32 v114, 0xbf52af12, v109
	v_mov_b32_e32 v115, v114
	v_fmac_f32_e32 v115, 0x3f116cb1, v118
	v_add_f32_e32 v115, v115, v152
	v_mul_f32_e32 v152, 0x3f116cb1, v119
	v_add_f32_e32 v167, v117, v167
	v_mov_b32_e32 v165, v152
	v_fma_f32 v114, v118, s3, -v114
	v_fmac_f32_e32 v152, 0xbf52af12, v108
	v_add_f32_e32 v114, v114, v151
	v_add_f32_e32 v151, v152, v167
	v_mul_f32_e32 v152, 0xbf6f5d39, v109
	v_add_f32_e32 v168, v117, v168
	v_add_f32_e32 v172, v117, v172
	;; [unrolled: 1-line block ×11, first 2 shown]
	v_mov_b32_e32 v166, v152
	v_fma_f32 v152, v118, s5, -v152
	v_fmac_f32_e32 v165, 0x3f52af12, v108
	v_fmac_f32_e32 v166, 0xbeb58ec6, v118
	v_mul_f32_e32 v167, 0xbeb58ec6, v119
	v_add_f32_e32 v152, v152, v169
	v_mul_f32_e32 v169, 0xbe750f2a, v109
	v_add_f32_e32 v165, v165, v168
	v_add_f32_e32 v166, v166, v170
	v_mov_b32_e32 v168, v167
	v_fmac_f32_e32 v167, 0xbf6f5d39, v108
	v_mov_b32_e32 v170, v169
	v_fma_f32 v169, v118, s13, -v169
	v_fmac_f32_e32 v168, 0x3f6f5d39, v108
	v_add_f32_e32 v167, v167, v171
	v_fmac_f32_e32 v170, 0xbf788fa5, v118
	v_mul_f32_e32 v171, 0xbf788fa5, v119
	v_add_f32_e32 v169, v169, v173
	v_mul_f32_e32 v173, 0x3f29c268, v109
	v_add_f32_e32 v168, v168, v172
	v_add_f32_e32 v170, v170, v174
	v_mov_b32_e32 v172, v171
	v_fmac_f32_e32 v171, 0xbe750f2a, v108
	v_mov_b32_e32 v174, v173
	v_fma_f32 v173, v118, s12, -v173
	v_fmac_f32_e32 v172, 0x3e750f2a, v108
	v_add_f32_e32 v171, v171, v175
	v_fmac_f32_e32 v174, 0xbf3f9e67, v118
	v_mul_f32_e32 v175, 0xbf3f9e67, v119
	v_add_f32_e32 v173, v173, v177
	v_mul_f32_e32 v177, 0x3f7e222b, v109
	v_add_f32_e32 v172, v172, v176
	v_add_f32_e32 v174, v174, v178
	v_mov_b32_e32 v176, v175
	v_fmac_f32_e32 v175, 0x3f29c268, v108
	v_mov_b32_e32 v178, v177
	v_fmac_f32_e32 v176, 0xbf29c268, v108
	v_add_f32_e32 v175, v175, v179
	v_fmac_f32_e32 v178, 0x3df6dbef, v118
	v_mul_f32_e32 v179, 0x3df6dbef, v119
	v_mul_f32_e32 v119, 0x3f62ad3f, v119
	v_add_f32_e32 v176, v176, v180
	v_add_f32_e32 v178, v178, v182
	v_mov_b32_e32 v180, v179
	v_fma_f32 v177, v118, s4, -v177
	v_mul_f32_e32 v109, 0x3eedf032, v109
	v_mov_b32_e32 v182, v119
	v_fmac_f32_e32 v119, 0x3eedf032, v108
	v_fmac_f32_e32 v180, 0xbf7e222b, v108
	v_add_f32_e32 v177, v177, v181
	v_fmac_f32_e32 v179, 0x3f7e222b, v108
	v_mov_b32_e32 v181, v109
	v_fmac_f32_e32 v182, 0xbeedf032, v108
	v_fma_f32 v109, v118, s2, -v109
	v_add_f32_e32 v108, v119, v117
	v_add_f32_e32 v117, v113, v111
	v_sub_f32_e32 v111, v111, v113
	v_add_f32_e32 v109, v109, v116
	v_add_f32_e32 v116, v112, v110
	v_sub_f32_e32 v110, v110, v112
	v_mul_f32_e32 v112, 0xbf7e222b, v111
	v_mov_b32_e32 v113, v112
	v_fmac_f32_e32 v113, 0x3df6dbef, v116
	v_add_f32_e32 v113, v113, v115
	v_mul_f32_e32 v115, 0x3df6dbef, v117
	v_fmac_f32_e32 v181, 0x3f62ad3f, v118
	v_mov_b32_e32 v118, v115
	v_fma_f32 v112, v116, s4, -v112
	v_fmac_f32_e32 v115, 0xbf7e222b, v110
	v_add_f32_e32 v112, v112, v114
	v_add_f32_e32 v114, v115, v151
	v_mul_f32_e32 v115, 0xbe750f2a, v111
	v_mov_b32_e32 v119, v115
	v_fma_f32 v115, v116, s13, -v115
	v_fmac_f32_e32 v118, 0x3f7e222b, v110
	v_fmac_f32_e32 v119, 0xbf788fa5, v116
	v_mul_f32_e32 v151, 0xbf788fa5, v117
	v_add_f32_e32 v115, v115, v152
	v_mul_f32_e32 v152, 0x3f6f5d39, v111
	v_add_f32_e32 v118, v118, v165
	v_add_f32_e32 v119, v119, v166
	v_mov_b32_e32 v165, v151
	v_fmac_f32_e32 v151, 0xbe750f2a, v110
	v_mov_b32_e32 v166, v152
	v_fma_f32 v152, v116, s5, -v152
	v_fmac_f32_e32 v165, 0x3e750f2a, v110
	v_add_f32_e32 v151, v151, v167
	v_fmac_f32_e32 v166, 0xbeb58ec6, v116
	v_mul_f32_e32 v167, 0xbeb58ec6, v117
	v_add_f32_e32 v152, v152, v169
	v_mul_f32_e32 v169, 0x3eedf032, v111
	v_add_f32_e32 v165, v165, v168
	v_add_f32_e32 v166, v166, v170
	v_mov_b32_e32 v168, v167
	v_fmac_f32_e32 v167, 0x3f6f5d39, v110
	v_mov_b32_e32 v170, v169
	v_fma_f32 v169, v116, s2, -v169
	v_fmac_f32_e32 v168, 0xbf6f5d39, v110
	v_add_f32_e32 v167, v167, v171
	v_fmac_f32_e32 v170, 0x3f62ad3f, v116
	v_mul_f32_e32 v171, 0x3f62ad3f, v117
	v_add_f32_e32 v169, v169, v173
	v_mul_f32_e32 v173, 0xbf52af12, v111
	v_add_f32_e32 v168, v168, v172
	v_add_f32_e32 v170, v170, v174
	v_mov_b32_e32 v172, v171
	v_fmac_f32_e32 v171, 0x3eedf032, v110
	v_mov_b32_e32 v174, v173
	v_fma_f32 v173, v116, s3, -v173
	v_mul_f32_e32 v111, 0xbf29c268, v111
	v_fmac_f32_e32 v172, 0xbeedf032, v110
	v_add_f32_e32 v171, v171, v175
	v_fmac_f32_e32 v174, 0x3f116cb1, v116
	v_mul_f32_e32 v175, 0x3f116cb1, v117
	v_add_f32_e32 v173, v173, v177
	v_mov_b32_e32 v177, v111
	v_mul_f32_e32 v117, 0xbf3f9e67, v117
	v_fma_f32 v111, v116, s12, -v111
	v_add_f32_e32 v172, v172, v176
	v_add_f32_e32 v174, v174, v178
	v_mov_b32_e32 v176, v175
	v_mov_b32_e32 v178, v117
	v_add_f32_e32 v109, v111, v109
	v_add_f32_e32 v111, v107, v101
	v_sub_f32_e32 v101, v101, v107
	v_fmac_f32_e32 v176, 0x3f52af12, v110
	v_fmac_f32_e32 v175, 0xbf52af12, v110
	;; [unrolled: 1-line block ×4, first 2 shown]
	v_add_f32_e32 v110, v106, v100
	v_sub_f32_e32 v100, v100, v106
	v_mul_f32_e32 v106, 0xbf6f5d39, v101
	v_mov_b32_e32 v107, v106
	v_fmac_f32_e32 v107, 0xbeb58ec6, v110
	v_add_f32_e32 v107, v107, v113
	v_mul_f32_e32 v113, 0xbeb58ec6, v111
	v_fmac_f32_e32 v177, 0xbf3f9e67, v116
	v_mov_b32_e32 v116, v113
	v_fma_f32 v106, v110, s5, -v106
	v_fmac_f32_e32 v113, 0xbf6f5d39, v100
	v_add_f32_e32 v108, v117, v108
	v_fmac_f32_e32 v116, 0x3f6f5d39, v100
	v_add_f32_e32 v106, v106, v112
	v_add_f32_e32 v112, v113, v114
	v_mul_f32_e32 v113, 0x3f29c268, v101
	v_mul_f32_e32 v117, 0xbf3f9e67, v111
	v_add_f32_e32 v116, v116, v118
	v_mov_b32_e32 v114, v113
	v_mov_b32_e32 v118, v117
	v_fma_f32 v113, v110, s12, -v113
	v_fmac_f32_e32 v117, 0x3f29c268, v100
	v_fmac_f32_e32 v114, 0xbf3f9e67, v110
	v_add_f32_e32 v113, v113, v115
	v_add_f32_e32 v115, v117, v151
	v_mul_f32_e32 v117, 0x3eedf032, v101
	v_add_f32_e32 v114, v114, v119
	v_mov_b32_e32 v119, v117
	v_fma_f32 v117, v110, s2, -v117
	v_fmac_f32_e32 v118, 0xbf29c268, v100
	v_fmac_f32_e32 v119, 0x3f62ad3f, v110
	v_mul_f32_e32 v151, 0x3f62ad3f, v111
	v_add_f32_e32 v117, v117, v152
	v_mul_f32_e32 v152, 0xbf7e222b, v101
	v_add_f32_e32 v118, v118, v165
	v_add_f32_e32 v119, v119, v166
	v_mov_b32_e32 v165, v151
	v_fmac_f32_e32 v151, 0x3eedf032, v100
	v_mov_b32_e32 v166, v152
	v_fma_f32 v152, v110, s4, -v152
	v_fmac_f32_e32 v165, 0xbeedf032, v100
	v_add_f32_e32 v151, v151, v167
	v_fmac_f32_e32 v166, 0x3df6dbef, v110
	v_mul_f32_e32 v167, 0x3df6dbef, v111
	v_add_f32_e32 v152, v152, v169
	v_mul_f32_e32 v169, 0x3e750f2a, v101
	v_add_f32_e32 v165, v165, v168
	v_add_f32_e32 v166, v166, v170
	v_mov_b32_e32 v168, v167
	v_fmac_f32_e32 v167, 0xbf7e222b, v100
	v_mov_b32_e32 v170, v169
	v_fma_f32 v169, v110, s13, -v169
	v_mul_f32_e32 v101, 0x3f52af12, v101
	v_fmac_f32_e32 v168, 0x3f7e222b, v100
	v_add_f32_e32 v167, v167, v171
	v_fmac_f32_e32 v170, 0xbf788fa5, v110
	v_mul_f32_e32 v171, 0xbf788fa5, v111
	v_add_f32_e32 v169, v169, v173
	v_mov_b32_e32 v173, v101
	v_mul_f32_e32 v111, 0x3f116cb1, v111
	v_fma_f32 v101, v110, s3, -v101
	v_add_f32_e32 v168, v168, v172
	v_add_f32_e32 v170, v170, v174
	v_mov_b32_e32 v172, v171
	v_mov_b32_e32 v174, v111
	v_add_f32_e32 v101, v101, v109
	v_fmac_f32_e32 v111, 0x3f52af12, v100
	v_add_f32_e32 v109, v105, v103
	v_sub_f32_e32 v103, v103, v105
	v_fmac_f32_e32 v172, 0xbe750f2a, v100
	v_fmac_f32_e32 v171, 0x3e750f2a, v100
	;; [unrolled: 1-line block ×3, first 2 shown]
	v_add_f32_e32 v100, v111, v108
	v_add_f32_e32 v108, v104, v102
	v_sub_f32_e32 v102, v102, v104
	v_mul_f32_e32 v104, 0xbf29c268, v103
	v_mov_b32_e32 v105, v104
	v_fmac_f32_e32 v105, 0xbf3f9e67, v108
	v_add_f32_e32 v105, v105, v107
	v_mul_f32_e32 v107, 0xbf3f9e67, v109
	v_fmac_f32_e32 v173, 0x3f116cb1, v110
	v_mov_b32_e32 v110, v107
	v_fma_f32 v104, v108, s12, -v104
	v_fmac_f32_e32 v107, 0xbf29c268, v102
	v_add_f32_e32 v104, v104, v106
	v_add_f32_e32 v106, v107, v112
	v_mul_f32_e32 v107, 0x3f7e222b, v103
	v_mov_b32_e32 v111, v107
	v_fmac_f32_e32 v111, 0x3df6dbef, v108
	v_mul_f32_e32 v112, 0x3df6dbef, v109
	v_fma_f32 v107, v108, s4, -v107
	v_add_f32_e32 v111, v111, v114
	v_mov_b32_e32 v114, v112
	v_add_f32_e32 v107, v107, v113
	v_fmac_f32_e32 v112, 0x3f7e222b, v102
	v_mul_f32_e32 v113, 0xbf52af12, v103
	v_fmac_f32_e32 v110, 0x3f29c268, v102
	v_add_f32_e32 v112, v112, v115
	v_mov_b32_e32 v115, v113
	v_fma_f32 v113, v108, s3, -v113
	v_add_f32_e32 v110, v110, v116
	v_fmac_f32_e32 v114, 0xbf7e222b, v102
	v_fmac_f32_e32 v115, 0x3f116cb1, v108
	v_mul_f32_e32 v116, 0x3f116cb1, v109
	v_add_f32_e32 v113, v113, v117
	v_mul_f32_e32 v117, 0x3e750f2a, v103
	v_add_f32_e32 v114, v114, v118
	v_add_f32_e32 v115, v115, v119
	v_mov_b32_e32 v118, v116
	v_fmac_f32_e32 v116, 0xbf52af12, v102
	v_mov_b32_e32 v119, v117
	v_fma_f32 v117, v108, s13, -v117
	v_fmac_f32_e32 v118, 0x3f52af12, v102
	v_add_f32_e32 v116, v116, v151
	v_fmac_f32_e32 v119, 0xbf788fa5, v108
	v_mul_f32_e32 v151, 0xbf788fa5, v109
	v_add_f32_e32 v117, v117, v152
	v_mul_f32_e32 v152, 0x3eedf032, v103
	v_add_f32_e32 v118, v118, v165
	v_add_f32_e32 v119, v119, v166
	v_mov_b32_e32 v165, v151
	v_fmac_f32_e32 v151, 0x3e750f2a, v102
	v_mov_b32_e32 v166, v152
	v_add_f32_e32 v182, v182, v186
	v_add_f32_e32 v151, v151, v167
	v_fmac_f32_e32 v166, 0x3f62ad3f, v108
	v_mul_f32_e32 v167, 0x3f62ad3f, v109
	v_mul_f32_e32 v109, 0xbeb58ec6, v109
	v_add_f32_e32 v178, v178, v182
	v_add_f32_e32 v166, v166, v170
	v_mov_b32_e32 v170, v109
	v_add_f32_e32 v180, v180, v184
	v_add_f32_e32 v181, v181, v185
	;; [unrolled: 1-line block ×3, first 2 shown]
	v_fma_f32 v152, v108, s2, -v152
	v_mul_f32_e32 v103, 0xbf6f5d39, v103
	v_fmac_f32_e32 v170, 0x3f6f5d39, v102
	v_add_f32_e32 v179, v179, v183
	v_add_f32_e32 v176, v176, v180
	;; [unrolled: 1-line block ×3, first 2 shown]
	v_fmac_f32_e32 v165, 0xbe750f2a, v102
	v_add_f32_e32 v152, v152, v169
	v_mov_b32_e32 v169, v103
	v_add_f32_e32 v170, v170, v174
	v_add_f32_e32 v174, v99, v97
	;; [unrolled: 1-line block ×6, first 2 shown]
	v_mov_b32_e32 v168, v167
	v_fmac_f32_e32 v169, 0xbeb58ec6, v108
	v_sub_f32_e32 v176, v97, v99
	v_mul_f32_e32 v99, 0xbf788fa5, v174
	v_add_f32_e32 v171, v171, v175
	v_fmac_f32_e32 v168, 0xbeedf032, v102
	v_fmac_f32_e32 v167, 0x3eedf032, v102
	v_add_f32_e32 v169, v169, v173
	v_fmac_f32_e32 v109, 0xbf6f5d39, v102
	v_add_f32_e32 v173, v98, v96
	v_sub_f32_e32 v175, v96, v98
	v_mul_f32_e32 v98, 0xbe750f2a, v176
	v_mov_b32_e32 v97, v99
	v_mul_f32_e32 v102, 0x3eedf032, v176
	v_add_f32_e32 v168, v168, v172
	v_fma_f32 v103, v108, s5, -v103
	v_add_f32_e32 v172, v109, v100
	v_mov_b32_e32 v96, v98
	v_fmac_f32_e32 v97, 0x3e750f2a, v175
	v_fmac_f32_e32 v99, 0xbe750f2a, v175
	v_mov_b32_e32 v100, v102
	v_fma_f32 v102, v173, s2, -v102
	v_add_f32_e32 v167, v167, v171
	v_add_f32_e32 v171, v103, v101
	v_fmac_f32_e32 v96, 0xbf788fa5, v173
	v_add_f32_e32 v97, v97, v110
	v_fma_f32 v98, v173, s13, -v98
	v_add_f32_e32 v99, v99, v106
	v_mul_f32_e32 v103, 0x3f62ad3f, v174
	v_add_f32_e32 v102, v102, v107
	v_mul_f32_e32 v106, 0xbf29c268, v176
	v_mul_f32_e32 v107, 0xbf3f9e67, v174
	;; [unrolled: 1-line block ×3, first 2 shown]
	v_add_f32_e32 v96, v96, v105
	v_add_f32_e32 v98, v98, v104
	v_mov_b32_e32 v101, v103
	v_mov_b32_e32 v104, v106
	;; [unrolled: 1-line block ×4, first 2 shown]
	v_fmac_f32_e32 v100, 0x3f62ad3f, v173
	v_fmac_f32_e32 v101, 0xbeedf032, v175
	;; [unrolled: 1-line block ×5, first 2 shown]
	v_add_f32_e32 v100, v100, v111
	v_add_f32_e32 v101, v101, v114
	v_fmac_f32_e32 v103, 0x3eedf032, v175
	v_add_f32_e32 v104, v104, v115
	v_add_f32_e32 v105, v105, v118
	v_fma_f32 v106, v173, s12, -v106
	v_fmac_f32_e32 v107, 0xbf29c268, v175
	v_add_f32_e32 v108, v108, v119
	v_mul_f32_e32 v111, 0x3f116cb1, v174
	v_fma_f32 v110, v173, s3, -v110
	v_mul_f32_e32 v114, 0xbf6f5d39, v176
	v_mul_f32_e32 v115, 0xbeb58ec6, v174
	v_mul_f32_e32 v118, 0x3f7e222b, v176
	v_mul_f32_e32 v119, 0x3df6dbef, v174
	v_add_f32_e32 v103, v103, v112
	v_add_f32_e32 v106, v106, v113
	;; [unrolled: 1-line block ×3, first 2 shown]
	v_mov_b32_e32 v109, v111
	v_add_f32_e32 v110, v110, v117
	v_mov_b32_e32 v112, v114
	v_mov_b32_e32 v113, v115
	;; [unrolled: 1-line block ×4, first 2 shown]
	v_add_u32_e32 v162, 0x1a0, v154
	v_fmac_f32_e32 v109, 0xbf52af12, v175
	v_fmac_f32_e32 v111, 0x3f52af12, v175
	;; [unrolled: 1-line block ×4, first 2 shown]
	v_fma_f32 v114, v173, s5, -v114
	v_fmac_f32_e32 v115, 0xbf6f5d39, v175
	v_fmac_f32_e32 v116, 0x3df6dbef, v173
	;; [unrolled: 1-line block ×3, first 2 shown]
	v_fma_f32 v118, v173, s4, -v118
	v_fmac_f32_e32 v119, 0x3f7e222b, v175
	v_add_f32_e32 v109, v109, v165
	v_add_f32_e32 v111, v111, v151
	;; [unrolled: 1-line block ×10, first 2 shown]
	s_waitcnt lgkmcnt(0)
	; wave barrier
	ds_write2_b64 v158, v[163:164], v[96:97] offset1:1
	ds_write2_b64 v158, v[100:101], v[104:105] offset0:2 offset1:3
	ds_write2_b64 v158, v[108:109], v[112:113] offset0:4 offset1:5
	;; [unrolled: 1-line block ×5, first 2 shown]
	ds_write_b64 v158, v[98:99] offset:96
	s_and_saveexec_b64 s[0:1], vcc
	s_cbranch_execz .LBB0_13
; %bb.12:
	v_add_f32_e32 v106, v150, v83
	v_mul_f32_e32 v108, 0xbf788fa5, v106
	v_add_f32_e32 v107, v79, v85
	v_sub_f32_e32 v109, v82, v149
	v_mov_b32_e32 v96, v108
	v_mul_f32_e32 v110, 0x3f62ad3f, v107
	v_fmac_f32_e32 v96, 0x3e750f2a, v109
	v_sub_f32_e32 v111, v84, v78
	v_mov_b32_e32 v97, v110
	v_add_f32_e32 v112, v77, v87
	v_add_f32_e32 v96, v81, v96
	v_fmac_f32_e32 v97, 0xbeedf032, v111
	v_mul_f32_e32 v113, 0xbf3f9e67, v112
	v_add_f32_e32 v96, v97, v96
	v_sub_f32_e32 v114, v86, v76
	v_mov_b32_e32 v97, v113
	v_add_f32_e32 v115, v95, v73
	v_fmac_f32_e32 v97, 0x3f29c268, v114
	v_mul_f32_e32 v116, 0x3f116cb1, v115
	v_add_f32_e32 v96, v97, v96
	v_sub_f32_e32 v117, v72, v94
	v_mov_b32_e32 v97, v116
	;; [unrolled: 6-line block ×4, first 2 shown]
	v_sub_f32_e32 v165, v83, v150
	v_fmac_f32_e32 v97, 0xbf7e222b, v163
	v_mul_f32_e32 v166, 0xbe750f2a, v165
	v_sub_f32_e32 v168, v85, v79
	v_add_f32_e32 v97, v97, v96
	v_add_f32_e32 v164, v149, v82
	v_mov_b32_e32 v96, v166
	v_mul_f32_e32 v169, 0x3eedf032, v168
	v_fmac_f32_e32 v96, 0xbf788fa5, v164
	v_add_f32_e32 v167, v78, v84
	v_mov_b32_e32 v98, v169
	v_sub_f32_e32 v171, v87, v77
	v_add_f32_e32 v96, v80, v96
	v_fmac_f32_e32 v98, 0x3f62ad3f, v167
	v_mul_f32_e32 v172, 0xbf29c268, v171
	v_add_f32_e32 v96, v98, v96
	v_add_f32_e32 v170, v76, v86
	v_mov_b32_e32 v98, v172
	v_sub_f32_e32 v174, v73, v95
	v_fmac_f32_e32 v98, 0xbf3f9e67, v170
	v_mul_f32_e32 v175, 0x3f52af12, v174
	v_add_f32_e32 v96, v98, v96
	v_add_f32_e32 v173, v94, v72
	v_mov_b32_e32 v98, v175
	v_sub_f32_e32 v177, v75, v93
	;; [unrolled: 6-line block ×3, first 2 shown]
	v_fmac_f32_e32 v98, 0xbeb58ec6, v176
	v_mul_f32_e32 v181, 0x3f7e222b, v180
	v_add_f32_e32 v96, v98, v96
	v_add_f32_e32 v179, v90, v88
	v_mov_b32_e32 v98, v181
	v_fmac_f32_e32 v98, 0x3df6dbef, v179
	v_mul_f32_e32 v182, 0xbf3f9e67, v106
	v_add_f32_e32 v96, v98, v96
	v_mov_b32_e32 v98, v182
	v_mul_f32_e32 v183, 0x3df6dbef, v107
	v_fmac_f32_e32 v98, 0x3f29c268, v109
	v_mov_b32_e32 v99, v183
	v_add_f32_e32 v98, v81, v98
	v_fmac_f32_e32 v99, 0xbf7e222b, v111
	v_mul_f32_e32 v184, 0x3f116cb1, v112
	v_add_f32_e32 v98, v99, v98
	v_mov_b32_e32 v99, v184
	v_fmac_f32_e32 v99, 0x3f52af12, v114
	v_mul_f32_e32 v185, 0xbf788fa5, v115
	v_add_f32_e32 v98, v99, v98
	v_mov_b32_e32 v99, v185
	v_fmac_f32_e32 v99, 0xbe750f2a, v117
	v_mul_f32_e32 v186, 0x3f62ad3f, v118
	v_add_f32_e32 v98, v99, v98
	v_mov_b32_e32 v99, v186
	v_fmac_f32_e32 v99, 0xbeedf032, v151
	v_mul_f32_e32 v187, 0xbeb58ec6, v152
	v_add_f32_e32 v98, v99, v98
	v_mov_b32_e32 v99, v187
	v_fmac_f32_e32 v99, 0x3f6f5d39, v163
	v_mul_f32_e32 v188, 0xbf29c268, v165
	v_add_f32_e32 v99, v99, v98
	v_mov_b32_e32 v98, v188
	v_mul_f32_e32 v189, 0x3f7e222b, v168
	v_fmac_f32_e32 v98, 0xbf3f9e67, v164
	v_mov_b32_e32 v100, v189
	v_add_f32_e32 v98, v80, v98
	v_fmac_f32_e32 v100, 0x3df6dbef, v167
	v_mul_f32_e32 v190, 0xbf52af12, v171
	v_add_f32_e32 v98, v100, v98
	v_mov_b32_e32 v100, v190
	v_fmac_f32_e32 v100, 0x3f116cb1, v170
	v_mul_f32_e32 v191, 0x3e750f2a, v174
	v_add_f32_e32 v98, v100, v98
	v_mov_b32_e32 v100, v191
	v_fmac_f32_e32 v100, 0xbf788fa5, v173
	v_mul_f32_e32 v192, 0x3eedf032, v177
	v_add_f32_e32 v98, v100, v98
	v_mov_b32_e32 v100, v192
	v_fmac_f32_e32 v100, 0x3f62ad3f, v176
	v_mul_f32_e32 v193, 0xbf6f5d39, v180
	;; [unrolled: 24-line block ×4, first 2 shown]
	v_add_f32_e32 v100, v102, v100
	v_mov_b32_e32 v102, v205
	v_fmac_f32_e32 v102, 0x3f116cb1, v179
	v_mul_f32_e32 v206, 0x3df6dbef, v106
	v_add_f32_e32 v100, v102, v100
	v_mov_b32_e32 v102, v206
	v_mul_f32_e32 v207, 0xbf788fa5, v107
	v_fmac_f32_e32 v102, 0x3f7e222b, v109
	v_mov_b32_e32 v103, v207
	v_add_f32_e32 v102, v81, v102
	v_fmac_f32_e32 v103, 0x3e750f2a, v111
	v_mul_f32_e32 v208, 0xbeb58ec6, v112
	v_add_f32_e32 v83, v83, v81
	v_add_f32_e32 v102, v103, v102
	v_mov_b32_e32 v103, v208
	v_add_f32_e32 v83, v85, v83
	v_fmac_f32_e32 v103, 0xbf6f5d39, v114
	v_mul_f32_e32 v209, 0x3f62ad3f, v115
	v_add_f32_e32 v83, v87, v83
	v_add_f32_e32 v102, v103, v102
	;; [unrolled: 6-line block ×3, first 2 shown]
	v_add_f32_e32 v102, v103, v102
	v_mov_b32_e32 v103, v210
	v_add_f32_e32 v75, v84, v75
	v_fmac_f32_e32 v103, 0x3f52af12, v151
	v_mul_f32_e32 v211, 0xbf3f9e67, v152
	v_add_f32_e32 v75, v86, v75
	v_add_f32_e32 v102, v103, v102
	v_mov_b32_e32 v103, v211
	v_add_f32_e32 v72, v72, v75
	v_fmac_f32_e32 v108, 0xbe750f2a, v109
	v_fmac_f32_e32 v103, 0x3f29c268, v163
	v_mul_f32_e32 v212, 0xbf7e222b, v165
	v_add_f32_e32 v72, v74, v72
	v_add_f32_e32 v74, v81, v108
	v_fmac_f32_e32 v110, 0x3eedf032, v111
	v_add_f32_e32 v103, v103, v102
	v_mov_b32_e32 v102, v212
	v_mul_f32_e32 v213, 0xbe750f2a, v168
	v_add_f32_e32 v74, v110, v74
	v_fmac_f32_e32 v113, 0xbf29c268, v114
	v_fmac_f32_e32 v102, 0x3df6dbef, v164
	v_mov_b32_e32 v104, v213
	v_add_f32_e32 v72, v88, v72
	v_add_f32_e32 v74, v113, v74
	v_fmac_f32_e32 v116, 0x3f52af12, v117
	v_add_f32_e32 v102, v80, v102
	v_fmac_f32_e32 v104, 0xbf788fa5, v167
	v_mul_f32_e32 v214, 0x3f6f5d39, v171
	v_add_f32_e32 v72, v90, v72
	v_add_f32_e32 v74, v116, v74
	v_fmac_f32_e32 v119, 0xbf6f5d39, v151
	v_add_f32_e32 v102, v104, v102
	v_mov_b32_e32 v104, v214
	v_add_f32_e32 v72, v92, v72
	v_add_f32_e32 v74, v119, v74
	v_fmac_f32_e32 v158, 0x3f7e222b, v163
	v_fmac_f32_e32 v104, 0xbeb58ec6, v170
	v_mul_f32_e32 v215, 0x3eedf032, v174
	v_add_f32_e32 v72, v94, v72
	v_add_f32_e32 v75, v158, v74
	v_fma_f32 v74, v164, s13, -v166
	v_add_f32_e32 v102, v104, v102
	v_mov_b32_e32 v104, v215
	v_add_f32_e32 v72, v76, v72
	v_add_f32_e32 v74, v80, v74
	v_fma_f32 v76, v167, s2, -v169
	v_fmac_f32_e32 v104, 0x3f62ad3f, v173
	v_mul_f32_e32 v216, 0xbf52af12, v177
	v_add_f32_e32 v74, v76, v74
	v_fma_f32 v76, v170, s12, -v172
	v_add_f32_e32 v102, v104, v102
	v_mov_b32_e32 v104, v216
	v_add_f32_e32 v74, v76, v74
	v_fma_f32 v76, v173, s3, -v175
	v_fmac_f32_e32 v104, 0x3f116cb1, v176
	v_mul_f32_e32 v217, 0xbf29c268, v180
	v_add_f32_e32 v74, v76, v74
	v_fma_f32 v76, v176, s5, -v178
	v_add_f32_e32 v102, v104, v102
	v_mov_b32_e32 v104, v217
	v_add_f32_e32 v74, v76, v74
	v_fma_f32 v76, v179, s4, -v181
	v_fmac_f32_e32 v182, 0xbf29c268, v109
	v_fmac_f32_e32 v104, 0xbf3f9e67, v179
	v_mul_f32_e32 v218, 0x3f116cb1, v106
	v_add_f32_e32 v74, v76, v74
	v_add_f32_e32 v76, v81, v182
	v_fmac_f32_e32 v183, 0x3f7e222b, v111
	v_add_f32_e32 v102, v104, v102
	v_mov_b32_e32 v104, v218
	v_mul_f32_e32 v219, 0xbeb58ec6, v107
	v_add_f32_e32 v73, v89, v73
	v_add_f32_e32 v76, v183, v76
	v_fmac_f32_e32 v184, 0xbf52af12, v114
	v_fmac_f32_e32 v104, 0x3f52af12, v109
	v_mov_b32_e32 v105, v219
	v_add_f32_e32 v73, v91, v73
	v_add_f32_e32 v76, v184, v76
	v_fmac_f32_e32 v185, 0x3e750f2a, v117
	v_add_f32_e32 v104, v81, v104
	v_fmac_f32_e32 v105, 0x3f6f5d39, v111
	v_mul_f32_e32 v220, 0xbf788fa5, v112
	v_add_f32_e32 v73, v93, v73
	v_add_f32_e32 v76, v185, v76
	v_fmac_f32_e32 v186, 0x3eedf032, v151
	v_add_f32_e32 v104, v105, v104
	v_mov_b32_e32 v105, v220
	v_add_f32_e32 v73, v95, v73
	v_add_f32_e32 v76, v186, v76
	v_fmac_f32_e32 v187, 0xbf6f5d39, v163
	v_fmac_f32_e32 v105, 0x3e750f2a, v114
	v_mul_f32_e32 v221, 0xbf3f9e67, v115
	v_add_f32_e32 v73, v77, v73
	v_add_f32_e32 v77, v187, v76
	v_fma_f32 v76, v164, s12, -v188
	v_add_f32_e32 v104, v105, v104
	v_mov_b32_e32 v105, v221
	v_add_f32_e32 v72, v78, v72
	v_add_f32_e32 v76, v80, v76
	v_fma_f32 v78, v167, s4, -v189
	v_fmac_f32_e32 v105, 0xbf29c268, v117
	v_mul_f32_e32 v222, 0x3df6dbef, v118
	v_add_f32_e32 v76, v78, v76
	v_fma_f32 v78, v170, s3, -v190
	v_add_f32_e32 v104, v105, v104
	v_mov_b32_e32 v105, v222
	v_add_f32_e32 v76, v78, v76
	v_fma_f32 v78, v173, s13, -v191
	v_fmac_f32_e32 v105, 0xbf7e222b, v151
	v_mul_f32_e32 v223, 0x3f62ad3f, v152
	v_add_f32_e32 v76, v78, v76
	v_fma_f32 v78, v176, s2, -v192
	v_add_f32_e32 v104, v105, v104
	v_mov_b32_e32 v105, v223
	v_add_f32_e32 v76, v78, v76
	v_fma_f32 v78, v179, s5, -v193
	v_fmac_f32_e32 v194, 0xbf6f5d39, v109
	v_fmac_f32_e32 v105, 0xbeedf032, v163
	v_mul_f32_e32 v224, 0xbf52af12, v165
	v_add_f32_e32 v76, v78, v76
	v_add_f32_e32 v78, v81, v194
	v_fmac_f32_e32 v195, 0x3f29c268, v111
	v_add_f32_e32 v105, v105, v104
	v_mov_b32_e32 v104, v224
	v_mul_f32_e32 v225, 0xbf6f5d39, v168
	v_add_f32_e32 v78, v195, v78
	v_fmac_f32_e32 v196, 0x3eedf032, v114
	v_fmac_f32_e32 v104, 0x3f116cb1, v164
	v_mov_b32_e32 v226, v225
	v_add_f32_e32 v78, v196, v78
	v_fmac_f32_e32 v197, 0xbf7e222b, v117
	v_add_f32_e32 v104, v80, v104
	v_fmac_f32_e32 v226, 0xbeb58ec6, v167
	;; [unrolled: 2-line block ×3, first 2 shown]
	v_add_f32_e32 v104, v226, v104
	v_mul_f32_e32 v226, 0xbe750f2a, v171
	v_add_f32_e32 v78, v198, v78
	v_fmac_f32_e32 v199, 0x3f52af12, v163
	v_mov_b32_e32 v227, v226
	v_add_f32_e32 v73, v79, v73
	v_add_f32_e32 v79, v199, v78
	v_fma_f32 v78, v164, s5, -v200
	v_fmac_f32_e32 v227, 0xbf788fa5, v170
	v_add_f32_e32 v78, v80, v78
	v_fma_f32 v82, v167, s12, -v201
	v_add_f32_e32 v104, v227, v104
	v_mul_f32_e32 v227, 0x3f29c268, v174
	v_add_f32_e32 v78, v82, v78
	v_fma_f32 v82, v170, s2, -v202
	v_mov_b32_e32 v228, v227
	v_add_f32_e32 v78, v82, v78
	v_fma_f32 v82, v173, s4, -v203
	v_fmac_f32_e32 v228, 0xbf3f9e67, v173
	v_add_f32_e32 v78, v82, v78
	v_fma_f32 v82, v176, s13, -v204
	v_add_f32_e32 v104, v228, v104
	v_mul_f32_e32 v228, 0x3f7e222b, v177
	v_add_f32_e32 v78, v82, v78
	v_fma_f32 v82, v179, s3, -v205
	v_fmac_f32_e32 v206, 0xbf7e222b, v109
	v_mov_b32_e32 v229, v228
	v_add_f32_e32 v78, v82, v78
	v_add_f32_e32 v82, v81, v206
	v_fmac_f32_e32 v207, 0xbe750f2a, v111
	v_fmac_f32_e32 v229, 0x3df6dbef, v176
	v_add_f32_e32 v82, v207, v82
	v_fmac_f32_e32 v208, 0x3f6f5d39, v114
	v_add_f32_e32 v104, v229, v104
	v_mul_f32_e32 v229, 0x3eedf032, v180
	v_add_f32_e32 v82, v208, v82
	v_fmac_f32_e32 v209, 0x3eedf032, v117
	v_mov_b32_e32 v230, v229
	v_add_f32_e32 v82, v209, v82
	v_fmac_f32_e32 v210, 0xbf52af12, v151
	v_fmac_f32_e32 v230, 0x3f62ad3f, v179
	v_add_f32_e32 v82, v210, v82
	v_fmac_f32_e32 v211, 0xbf29c268, v163
	v_add_f32_e32 v104, v230, v104
	v_mul_f32_e32 v230, 0x3f62ad3f, v106
	v_add_f32_e32 v83, v211, v82
	v_fma_f32 v82, v164, s4, -v212
	v_mov_b32_e32 v106, v230
	v_mul_f32_e32 v231, 0x3f116cb1, v107
	v_add_f32_e32 v82, v80, v82
	v_fma_f32 v84, v167, s13, -v213
	v_fmac_f32_e32 v106, 0x3eedf032, v109
	v_mov_b32_e32 v107, v231
	v_add_f32_e32 v82, v84, v82
	v_fma_f32 v84, v170, s5, -v214
	v_add_f32_e32 v106, v81, v106
	v_fmac_f32_e32 v107, 0x3f52af12, v111
	v_mul_f32_e32 v112, 0x3df6dbef, v112
	v_add_f32_e32 v82, v84, v82
	v_fma_f32 v84, v173, s2, -v215
	v_add_f32_e32 v106, v107, v106
	v_mov_b32_e32 v107, v112
	v_add_f32_e32 v82, v84, v82
	v_fma_f32 v84, v176, s3, -v216
	v_fmac_f32_e32 v107, 0x3f7e222b, v114
	v_mul_f32_e32 v115, 0xbeb58ec6, v115
	v_add_f32_e32 v82, v84, v82
	v_fma_f32 v84, v179, s12, -v217
	v_fmac_f32_e32 v218, 0xbf52af12, v109
	v_add_f32_e32 v106, v107, v106
	v_mov_b32_e32 v107, v115
	v_add_f32_e32 v82, v84, v82
	v_add_f32_e32 v84, v81, v218
	v_fmac_f32_e32 v219, 0xbf6f5d39, v111
	v_fmac_f32_e32 v107, 0x3f6f5d39, v117
	v_mul_f32_e32 v118, 0xbf3f9e67, v118
	v_add_f32_e32 v84, v219, v84
	v_fmac_f32_e32 v220, 0xbe750f2a, v114
	v_add_f32_e32 v106, v107, v106
	v_mov_b32_e32 v107, v118
	v_add_f32_e32 v84, v220, v84
	v_fmac_f32_e32 v221, 0x3f29c268, v117
	v_fmac_f32_e32 v107, 0x3f29c268, v151
	v_mul_f32_e32 v152, 0xbf788fa5, v152
	v_add_f32_e32 v84, v221, v84
	v_fmac_f32_e32 v222, 0x3f7e222b, v151
	v_add_f32_e32 v106, v107, v106
	v_mov_b32_e32 v107, v152
	v_add_f32_e32 v84, v222, v84
	v_fmac_f32_e32 v223, 0x3eedf032, v163
	v_fmac_f32_e32 v107, 0x3e750f2a, v163
	v_mul_f32_e32 v165, 0xbeedf032, v165
	v_add_f32_e32 v85, v223, v84
	v_fma_f32 v84, v164, s3, -v224
	v_add_f32_e32 v107, v107, v106
	v_mov_b32_e32 v106, v165
	v_mul_f32_e32 v168, 0xbf52af12, v168
	v_add_f32_e32 v84, v80, v84
	v_fma_f32 v86, v167, s5, -v225
	v_fmac_f32_e32 v106, 0x3f62ad3f, v164
	v_mov_b32_e32 v232, v168
	v_add_f32_e32 v84, v86, v84
	v_fma_f32 v86, v170, s13, -v226
	v_add_f32_e32 v106, v80, v106
	v_fmac_f32_e32 v232, 0x3f116cb1, v167
	v_mul_f32_e32 v171, 0xbf7e222b, v171
	v_add_f32_e32 v84, v86, v84
	v_fma_f32 v86, v173, s12, -v227
	v_add_f32_e32 v106, v232, v106
	v_mov_b32_e32 v232, v171
	v_add_f32_e32 v84, v86, v84
	v_fma_f32 v86, v176, s4, -v228
	v_fmac_f32_e32 v232, 0x3df6dbef, v170
	v_mul_f32_e32 v174, 0xbf6f5d39, v174
	v_add_f32_e32 v84, v86, v84
	v_fma_f32 v86, v179, s2, -v229
	v_add_f32_e32 v106, v232, v106
	v_mov_b32_e32 v232, v174
	v_add_f32_e32 v84, v86, v84
	v_fma_f32 v86, v164, s2, -v165
	v_fmac_f32_e32 v232, 0xbeb58ec6, v173
	v_mul_f32_e32 v177, 0xbf29c268, v177
	v_fmac_f32_e32 v230, 0xbeedf032, v109
	v_add_f32_e32 v80, v80, v86
	v_fma_f32 v86, v167, s3, -v168
	v_add_f32_e32 v106, v232, v106
	v_mov_b32_e32 v232, v177
	v_add_f32_e32 v81, v81, v230
	v_fmac_f32_e32 v231, 0xbf52af12, v111
	v_add_f32_e32 v80, v86, v80
	v_fma_f32 v86, v170, s4, -v171
	v_fmac_f32_e32 v232, 0xbf3f9e67, v176
	v_mul_f32_e32 v180, 0xbe750f2a, v180
	v_add_f32_e32 v81, v231, v81
	v_fmac_f32_e32 v112, 0xbf7e222b, v114
	v_add_f32_e32 v80, v86, v80
	v_fma_f32 v86, v173, s5, -v174
	v_add_f32_e32 v106, v232, v106
	v_mov_b32_e32 v232, v180
	v_add_f32_e32 v81, v112, v81
	v_fmac_f32_e32 v115, 0xbf6f5d39, v117
	v_add_f32_e32 v80, v86, v80
	v_fma_f32 v86, v176, s12, -v177
	v_fmac_f32_e32 v232, 0xbf788fa5, v179
	v_add_f32_e32 v81, v115, v81
	v_fmac_f32_e32 v118, 0xbf29c268, v151
	v_add_f32_e32 v80, v86, v80
	v_fma_f32 v86, v179, s13, -v180
	v_add_f32_e32 v106, v232, v106
	v_add_f32_e32 v73, v150, v73
	;; [unrolled: 1-line block ×4, first 2 shown]
	v_fmac_f32_e32 v152, 0xbe750f2a, v163
	v_add_f32_e32 v80, v86, v80
	v_lshl_add_u32 v86, v156, 3, v155
	v_add_f32_e32 v81, v152, v81
	ds_write2_b64 v86, v[72:73], v[106:107] offset1:1
	ds_write2_b64 v86, v[104:105], v[102:103] offset0:2 offset1:3
	ds_write2_b64 v86, v[100:101], v[98:99] offset0:4 offset1:5
	;; [unrolled: 1-line block ×5, first 2 shown]
	ds_write_b64 v86, v[80:81] offset:96
.LBB0_13:
	s_or_b64 exec, exec, s[0:1]
	s_waitcnt lgkmcnt(0)
	; wave barrier
	s_waitcnt lgkmcnt(0)
	ds_read2_b64 v[80:83], v154 offset1:13
	ds_read2_b64 v[72:75], v154 offset0:52 offset1:65
	ds_read2_b64 v[87:90], v154 offset0:130 offset1:143
	;; [unrolled: 1-line block ×3, first 2 shown]
	v_add_u32_e32 v86, 0x800, v154
	ds_read2_b64 v[95:98], v86 offset0:4 offset1:17
	ds_read2_b64 v[99:102], v154 offset0:78 offset1:91
	;; [unrolled: 1-line block ×8, first 2 shown]
	ds_read_b64 v[155:156], v154 offset:2496
	s_waitcnt lgkmcnt(11)
	v_mul_f32_e32 v119, v5, v75
	v_fmac_f32_e32 v119, v4, v74
	v_mul_f32_e32 v74, v5, v74
	v_fma_f32 v74, v4, v75, -v74
	s_waitcnt lgkmcnt(10)
	v_mul_f32_e32 v75, v7, v88
	v_fmac_f32_e32 v75, v6, v87
	v_mul_f32_e32 v87, v7, v87
	v_fma_f32 v87, v6, v88, -v87
	;; [unrolled: 5-line block ×4, first 2 shown]
	s_waitcnt lgkmcnt(7)
	v_mul_f32_e32 v96, v5, v100
	v_mul_f32_e32 v5, v5, v99
	v_fmac_f32_e32 v96, v4, v99
	v_fma_f32 v99, v4, v100, -v5
	v_mul_f32_e32 v100, v7, v90
	v_mul_f32_e32 v4, v7, v89
	v_fmac_f32_e32 v100, v6, v89
	v_fma_f32 v89, v6, v90, -v4
	s_waitcnt lgkmcnt(6)
	v_mul_f32_e32 v90, v1, v104
	v_mul_f32_e32 v1, v1, v103
	v_fmac_f32_e32 v90, v0, v103
	v_fma_f32 v103, v0, v104, -v1
	v_mul_f32_e32 v104, v3, v98
	v_mul_f32_e32 v0, v3, v97
	v_add_f32_e32 v1, v75, v88
	v_fmac_f32_e32 v104, v2, v97
	v_fma_f32 v97, v2, v98, -v0
	v_fma_f32 v2, -0.5, v1, v80
	v_sub_f32_e32 v1, v74, v95
	v_mov_b32_e32 v4, v2
	v_fmac_f32_e32 v4, 0xbf737871, v1
	v_sub_f32_e32 v3, v87, v93
	v_sub_f32_e32 v5, v119, v75
	;; [unrolled: 1-line block ×3, first 2 shown]
	v_fmac_f32_e32 v2, 0x3f737871, v1
	v_mul_f32_e32 v98, v13, v102
	v_mul_f32_e32 v0, v13, v101
	v_fmac_f32_e32 v4, 0xbf167918, v3
	v_add_f32_e32 v5, v5, v6
	v_fmac_f32_e32 v2, 0x3f167918, v3
	v_fmac_f32_e32 v98, v12, v101
	v_fma_f32 v101, v12, v102, -v0
	s_waitcnt lgkmcnt(4)
	v_mul_f32_e32 v102, v15, v108
	v_mul_f32_e32 v0, v15, v107
	v_fmac_f32_e32 v4, 0x3e9e377a, v5
	v_fmac_f32_e32 v2, 0x3e9e377a, v5
	v_add_f32_e32 v5, v119, v94
	v_fmac_f32_e32 v102, v14, v107
	v_fma_f32 v107, v14, v108, -v0
	v_mul_f32_e32 v108, v9, v106
	v_mul_f32_e32 v0, v9, v105
	v_fma_f32 v6, -0.5, v5, v80
	v_fmac_f32_e32 v108, v8, v105
	v_fma_f32 v105, v8, v106, -v0
	v_mov_b32_e32 v8, v6
	v_fmac_f32_e32 v8, 0x3f737871, v3
	v_sub_f32_e32 v5, v75, v119
	v_sub_f32_e32 v7, v88, v94
	v_fmac_f32_e32 v6, 0xbf737871, v3
	v_add_f32_e32 v3, v87, v93
	s_waitcnt lgkmcnt(3)
	v_mul_f32_e32 v106, v11, v112
	v_mul_f32_e32 v0, v11, v111
	v_fmac_f32_e32 v8, 0xbf167918, v1
	v_add_f32_e32 v5, v5, v7
	v_fmac_f32_e32 v6, 0x3f167918, v1
	v_fma_f32 v3, -0.5, v3, v81
	v_fmac_f32_e32 v106, v10, v111
	v_fma_f32 v111, v10, v112, -v0
	v_fmac_f32_e32 v8, 0x3e9e377a, v5
	v_fmac_f32_e32 v6, 0x3e9e377a, v5
	v_sub_f32_e32 v10, v119, v94
	v_mov_b32_e32 v5, v3
	v_fmac_f32_e32 v5, 0x3f737871, v10
	v_sub_f32_e32 v11, v75, v88
	v_sub_f32_e32 v7, v74, v87
	;; [unrolled: 1-line block ×3, first 2 shown]
	v_fmac_f32_e32 v3, 0xbf737871, v10
	v_fmac_f32_e32 v5, 0x3f167918, v11
	v_add_f32_e32 v7, v7, v9
	v_fmac_f32_e32 v3, 0xbf167918, v11
	v_fmac_f32_e32 v5, 0x3e9e377a, v7
	;; [unrolled: 1-line block ×3, first 2 shown]
	v_add_f32_e32 v7, v74, v95
	v_fma_f32 v7, -0.5, v7, v81
	v_mov_b32_e32 v9, v7
	v_fmac_f32_e32 v9, 0xbf737871, v11
	v_sub_f32_e32 v12, v87, v74
	v_sub_f32_e32 v13, v93, v95
	v_fmac_f32_e32 v7, 0x3f737871, v11
	s_waitcnt lgkmcnt(2)
	v_mul_f32_e32 v112, v21, v116
	v_mul_f32_e32 v0, v21, v115
	v_fmac_f32_e32 v9, 0x3f167918, v10
	v_add_f32_e32 v12, v12, v13
	v_fmac_f32_e32 v7, 0xbf167918, v10
	v_add_f32_e32 v11, v100, v90
	v_fmac_f32_e32 v112, v20, v115
	v_fma_f32 v115, v20, v116, -v0
	v_mul_f32_e32 v116, v23, v110
	v_mul_f32_e32 v0, v23, v109
	v_fmac_f32_e32 v9, 0x3e9e377a, v12
	v_fmac_f32_e32 v7, 0x3e9e377a, v12
	v_fma_f32 v12, -0.5, v11, v82
	v_fmac_f32_e32 v116, v22, v109
	v_fma_f32 v109, v22, v110, -v0
	s_waitcnt lgkmcnt(1)
	v_mul_f32_e32 v110, v17, v150
	v_mul_f32_e32 v0, v17, v149
	v_sub_f32_e32 v11, v99, v97
	v_mov_b32_e32 v14, v12
	v_fmac_f32_e32 v110, v16, v149
	v_fma_f32 v149, v16, v150, -v0
	v_fmac_f32_e32 v14, 0xbf737871, v11
	v_sub_f32_e32 v13, v89, v103
	v_sub_f32_e32 v15, v96, v100
	;; [unrolled: 1-line block ×3, first 2 shown]
	v_fmac_f32_e32 v12, 0x3f737871, v11
	v_fmac_f32_e32 v14, 0xbf167918, v13
	v_add_f32_e32 v15, v15, v16
	v_fmac_f32_e32 v12, 0x3f167918, v13
	v_fmac_f32_e32 v14, 0x3e9e377a, v15
	;; [unrolled: 1-line block ×3, first 2 shown]
	v_add_f32_e32 v15, v96, v104
	v_add_f32_e32 v10, v82, v96
	v_fma_f32 v82, -0.5, v15, v82
	v_mov_b32_e32 v16, v82
	v_fmac_f32_e32 v16, 0x3f737871, v13
	v_sub_f32_e32 v15, v100, v96
	v_sub_f32_e32 v17, v90, v104
	v_fmac_f32_e32 v82, 0xbf737871, v13
	v_add_f32_e32 v13, v89, v103
	v_mul_f32_e32 v150, v19, v114
	v_mul_f32_e32 v0, v19, v113
	v_fmac_f32_e32 v16, 0xbf167918, v11
	v_add_f32_e32 v15, v15, v17
	v_fmac_f32_e32 v82, 0x3f167918, v11
	v_fma_f32 v13, -0.5, v13, v83
	v_fmac_f32_e32 v150, v18, v113
	v_fma_f32 v113, v18, v114, -v0
	v_fmac_f32_e32 v16, 0x3e9e377a, v15
	v_fmac_f32_e32 v82, 0x3e9e377a, v15
	v_sub_f32_e32 v18, v96, v104
	v_mov_b32_e32 v15, v13
	v_fmac_f32_e32 v15, 0x3f737871, v18
	v_sub_f32_e32 v19, v100, v90
	v_sub_f32_e32 v17, v99, v89
	;; [unrolled: 1-line block ×3, first 2 shown]
	v_fmac_f32_e32 v13, 0xbf737871, v18
	v_fmac_f32_e32 v15, 0x3f167918, v19
	v_add_f32_e32 v17, v17, v20
	v_fmac_f32_e32 v13, 0xbf167918, v19
	v_fmac_f32_e32 v15, 0x3e9e377a, v17
	;; [unrolled: 1-line block ×3, first 2 shown]
	v_add_f32_e32 v17, v99, v97
	v_add_f32_e32 v11, v83, v99
	v_fmac_f32_e32 v83, -0.5, v17
	v_mov_b32_e32 v17, v83
	v_fmac_f32_e32 v17, 0xbf737871, v19
	v_sub_f32_e32 v20, v89, v99
	v_sub_f32_e32 v21, v103, v97
	v_fmac_f32_e32 v83, 0x3f737871, v19
	v_mul_f32_e32 v114, v29, v118
	v_mul_f32_e32 v0, v29, v117
	v_fmac_f32_e32 v17, 0x3f167918, v18
	v_add_f32_e32 v20, v20, v21
	v_fmac_f32_e32 v83, 0xbf167918, v18
	v_add_f32_e32 v19, v102, v108
	v_fmac_f32_e32 v114, v28, v117
	v_fma_f32 v117, v28, v118, -v0
	v_mul_f32_e32 v0, v31, v91
	v_fmac_f32_e32 v17, 0x3e9e377a, v20
	v_fmac_f32_e32 v83, 0x3e9e377a, v20
	v_fma_f32 v20, -0.5, v19, v76
	v_mul_f32_e32 v118, v31, v92
	v_fma_f32 v158, v30, v92, -v0
	v_mul_f32_e32 v92, v25, v152
	v_mul_f32_e32 v0, v25, v151
	v_sub_f32_e32 v19, v101, v111
	v_mov_b32_e32 v22, v20
	v_fmac_f32_e32 v92, v24, v151
	v_fma_f32 v151, v24, v152, -v0
	v_fmac_f32_e32 v22, 0xbf737871, v19
	v_sub_f32_e32 v21, v107, v105
	v_sub_f32_e32 v23, v98, v102
	v_sub_f32_e32 v24, v106, v108
	v_fmac_f32_e32 v20, 0x3f737871, v19
	v_fmac_f32_e32 v22, 0xbf167918, v21
	v_add_f32_e32 v23, v23, v24
	v_fmac_f32_e32 v20, 0x3f167918, v21
	v_fmac_f32_e32 v22, 0x3e9e377a, v23
	;; [unrolled: 1-line block ×3, first 2 shown]
	v_add_f32_e32 v23, v98, v106
	s_waitcnt lgkmcnt(0)
	v_mul_f32_e32 v152, v27, v156
	v_mul_f32_e32 v0, v27, v155
	v_fma_f32 v24, -0.5, v23, v76
	v_fmac_f32_e32 v152, v26, v155
	v_fma_f32 v155, v26, v156, -v0
	v_mov_b32_e32 v26, v24
	v_fmac_f32_e32 v26, 0x3f737871, v21
	v_sub_f32_e32 v23, v102, v98
	v_sub_f32_e32 v25, v108, v106
	v_fmac_f32_e32 v24, 0xbf737871, v21
	v_add_f32_e32 v21, v107, v105
	v_fmac_f32_e32 v26, 0xbf167918, v19
	v_add_f32_e32 v23, v23, v25
	v_fmac_f32_e32 v24, 0x3f167918, v19
	v_fma_f32 v21, -0.5, v21, v77
	v_fmac_f32_e32 v26, 0x3e9e377a, v23
	v_fmac_f32_e32 v24, 0x3e9e377a, v23
	v_sub_f32_e32 v28, v98, v106
	v_mov_b32_e32 v23, v21
	v_fmac_f32_e32 v23, 0x3f737871, v28
	v_sub_f32_e32 v29, v102, v108
	v_sub_f32_e32 v25, v101, v107
	;; [unrolled: 1-line block ×3, first 2 shown]
	v_fmac_f32_e32 v21, 0xbf737871, v28
	v_fmac_f32_e32 v23, 0x3f167918, v29
	v_add_f32_e32 v25, v25, v27
	v_fmac_f32_e32 v21, 0xbf167918, v29
	v_fmac_f32_e32 v23, 0x3e9e377a, v25
	;; [unrolled: 1-line block ×3, first 2 shown]
	v_add_f32_e32 v25, v101, v111
	v_fma_f32 v25, -0.5, v25, v77
	v_mov_b32_e32 v27, v25
	v_fmac_f32_e32 v118, v30, v91
	v_fmac_f32_e32 v27, 0xbf737871, v29
	v_sub_f32_e32 v30, v107, v101
	v_sub_f32_e32 v31, v105, v111
	v_fmac_f32_e32 v25, 0x3f737871, v29
	v_fmac_f32_e32 v27, 0x3f167918, v28
	v_add_f32_e32 v30, v30, v31
	v_fmac_f32_e32 v25, 0xbf167918, v28
	v_add_f32_e32 v29, v116, v110
	v_fmac_f32_e32 v27, 0x3e9e377a, v30
	v_fmac_f32_e32 v25, 0x3e9e377a, v30
	v_fma_f32 v30, -0.5, v29, v78
	v_add_f32_e32 v0, v80, v119
	v_add_f32_e32 v1, v81, v74
	v_sub_f32_e32 v29, v115, v113
	v_mov_b32_e32 v74, v30
	v_add_f32_e32 v0, v0, v75
	v_add_f32_e32 v18, v76, v98
	v_fmac_f32_e32 v74, 0xbf737871, v29
	v_sub_f32_e32 v31, v109, v149
	v_sub_f32_e32 v75, v112, v116
	;; [unrolled: 1-line block ×3, first 2 shown]
	v_fmac_f32_e32 v30, 0x3f737871, v29
	v_fmac_f32_e32 v74, 0xbf167918, v31
	v_add_f32_e32 v75, v75, v76
	v_fmac_f32_e32 v30, 0x3f167918, v31
	v_fmac_f32_e32 v74, 0x3e9e377a, v75
	;; [unrolled: 1-line block ×3, first 2 shown]
	v_add_f32_e32 v75, v112, v150
	v_add_f32_e32 v28, v78, v112
	v_fma_f32 v78, -0.5, v75, v78
	v_mov_b32_e32 v76, v78
	v_add_f32_e32 v19, v77, v101
	v_fmac_f32_e32 v76, 0x3f737871, v31
	v_sub_f32_e32 v75, v116, v112
	v_sub_f32_e32 v77, v110, v150
	v_fmac_f32_e32 v78, 0xbf737871, v31
	v_add_f32_e32 v31, v109, v149
	v_fmac_f32_e32 v76, 0xbf167918, v29
	v_add_f32_e32 v75, v75, v77
	v_fmac_f32_e32 v78, 0x3f167918, v29
	v_fma_f32 v31, -0.5, v31, v79
	v_fmac_f32_e32 v76, 0x3e9e377a, v75
	v_fmac_f32_e32 v78, 0x3e9e377a, v75
	v_sub_f32_e32 v80, v112, v150
	v_mov_b32_e32 v75, v31
	v_add_f32_e32 v1, v1, v87
	v_fmac_f32_e32 v75, 0x3f737871, v80
	v_sub_f32_e32 v81, v116, v110
	v_sub_f32_e32 v77, v115, v109
	;; [unrolled: 1-line block ×3, first 2 shown]
	v_fmac_f32_e32 v31, 0xbf737871, v80
	v_fmac_f32_e32 v75, 0x3f167918, v81
	v_add_f32_e32 v77, v77, v87
	v_fmac_f32_e32 v31, 0xbf167918, v81
	v_fmac_f32_e32 v75, 0x3e9e377a, v77
	;; [unrolled: 1-line block ×3, first 2 shown]
	v_add_f32_e32 v77, v115, v113
	v_add_f32_e32 v29, v79, v115
	v_fmac_f32_e32 v79, -0.5, v77
	v_mov_b32_e32 v77, v79
	v_add_f32_e32 v0, v0, v88
	v_fmac_f32_e32 v77, 0xbf737871, v81
	v_sub_f32_e32 v87, v109, v115
	v_sub_f32_e32 v88, v149, v113
	v_fmac_f32_e32 v79, 0x3f737871, v81
	v_fmac_f32_e32 v77, 0x3f167918, v80
	v_add_f32_e32 v87, v87, v88
	v_fmac_f32_e32 v79, 0xbf167918, v80
	v_add_f32_e32 v81, v118, v92
	v_fmac_f32_e32 v77, 0x3e9e377a, v87
	v_fmac_f32_e32 v79, 0x3e9e377a, v87
	v_fma_f32 v87, -0.5, v81, v72
	v_add_f32_e32 v10, v10, v100
	v_add_f32_e32 v11, v11, v89
	v_sub_f32_e32 v81, v117, v155
	v_mov_b32_e32 v89, v87
	v_add_f32_e32 v10, v10, v90
	v_fmac_f32_e32 v89, 0xbf737871, v81
	v_sub_f32_e32 v88, v158, v151
	v_sub_f32_e32 v90, v114, v118
	;; [unrolled: 1-line block ×3, first 2 shown]
	v_fmac_f32_e32 v87, 0x3f737871, v81
	v_fmac_f32_e32 v89, 0xbf167918, v88
	v_add_f32_e32 v90, v90, v91
	v_fmac_f32_e32 v87, 0x3f167918, v88
	v_fmac_f32_e32 v89, 0x3e9e377a, v90
	;; [unrolled: 1-line block ×3, first 2 shown]
	v_add_f32_e32 v90, v114, v152
	v_add_f32_e32 v80, v72, v114
	v_fma_f32 v72, -0.5, v90, v72
	v_mov_b32_e32 v91, v72
	v_add_f32_e32 v1, v1, v93
	v_fmac_f32_e32 v91, 0x3f737871, v88
	v_sub_f32_e32 v90, v118, v114
	v_sub_f32_e32 v93, v92, v152
	v_fmac_f32_e32 v72, 0xbf737871, v88
	v_add_f32_e32 v88, v158, v151
	v_fmac_f32_e32 v91, 0xbf167918, v81
	v_add_f32_e32 v90, v90, v93
	v_fmac_f32_e32 v72, 0x3f167918, v81
	v_fma_f32 v88, -0.5, v88, v73
	v_add_f32_e32 v80, v80, v118
	v_fmac_f32_e32 v91, 0x3e9e377a, v90
	v_fmac_f32_e32 v72, 0x3e9e377a, v90
	v_sub_f32_e32 v93, v114, v152
	v_mov_b32_e32 v90, v88
	v_add_f32_e32 v0, v0, v94
	v_add_f32_e32 v1, v1, v95
	;; [unrolled: 1-line block ×3, first 2 shown]
	v_fmac_f32_e32 v90, 0x3f737871, v93
	v_sub_f32_e32 v94, v118, v92
	v_sub_f32_e32 v92, v117, v158
	;; [unrolled: 1-line block ×3, first 2 shown]
	v_fmac_f32_e32 v88, 0xbf737871, v93
	v_fmac_f32_e32 v90, 0x3f167918, v94
	v_add_f32_e32 v92, v92, v95
	v_fmac_f32_e32 v88, 0xbf167918, v94
	v_fmac_f32_e32 v90, 0x3e9e377a, v92
	;; [unrolled: 1-line block ×3, first 2 shown]
	v_add_f32_e32 v92, v117, v155
	v_add_f32_e32 v81, v73, v117
	v_fmac_f32_e32 v73, -0.5, v92
	v_mov_b32_e32 v92, v73
	v_add_f32_e32 v18, v18, v102
	v_add_f32_e32 v19, v19, v107
	;; [unrolled: 1-line block ×5, first 2 shown]
	v_fmac_f32_e32 v92, 0xbf737871, v94
	v_sub_f32_e32 v95, v158, v117
	v_sub_f32_e32 v96, v151, v155
	v_fmac_f32_e32 v73, 0x3f737871, v94
	v_add_f32_e32 v11, v11, v103
	v_add_f32_e32 v18, v18, v108
	;; [unrolled: 1-line block ×6, first 2 shown]
	v_fmac_f32_e32 v92, 0x3f167918, v93
	v_add_f32_e32 v95, v95, v96
	v_fmac_f32_e32 v73, 0xbf167918, v93
	v_add_f32_e32 v10, v10, v104
	v_add_f32_e32 v11, v11, v97
	;; [unrolled: 1-line block ×8, first 2 shown]
	v_fmac_f32_e32 v92, 0x3e9e377a, v95
	v_fmac_f32_e32 v73, 0x3e9e377a, v95
	s_waitcnt lgkmcnt(0)
	; wave barrier
	ds_write2_b64 v154, v[0:1], v[4:5] offset1:13
	ds_write2_b64 v154, v[8:9], v[6:7] offset0:26 offset1:39
	ds_write2_b64 v154, v[2:3], v[10:11] offset0:52 offset1:65
	;; [unrolled: 1-line block ×6, first 2 shown]
	ds_write_b64 v159, v[20:21] offset:1456
	ds_write2_b64 v160, v[28:29], v[74:75] offset0:195 offset1:208
	ds_write2_b64 v160, v[76:77], v[78:79] offset0:221 offset1:234
	ds_write_b64 v160, v[30:31] offset:1976
	v_add_u32_e32 v0, 0x800, v161
	ds_write2_b64 v0, v[80:81], v[89:90] offset0:4 offset1:17
	ds_write2_b64 v0, v[91:92], v[72:73] offset0:30 offset1:43
	ds_write_b64 v161, v[87:88] offset:2496
	s_waitcnt lgkmcnt(0)
	; wave barrier
	s_waitcnt lgkmcnt(0)
	ds_read2_b64 v[8:11], v154 offset1:13
	ds_read2_b64 v[0:3], v154 offset0:52 offset1:65
	ds_read2_b64 v[12:15], v154 offset0:130 offset1:143
	;; [unrolled: 1-line block ×11, first 2 shown]
	ds_read_b64 v[91:92], v154 offset:2496
	s_waitcnt lgkmcnt(11)
	v_mul_f32_e32 v93, v41, v3
	v_fmac_f32_e32 v93, v40, v2
	v_mul_f32_e32 v2, v41, v2
	v_fma_f32 v40, v40, v3, -v2
	s_waitcnt lgkmcnt(10)
	v_mul_f32_e32 v41, v43, v13
	v_mul_f32_e32 v2, v43, v12
	v_fmac_f32_e32 v41, v42, v12
	v_fma_f32 v42, v42, v13, -v2
	s_waitcnt lgkmcnt(9)
	v_mul_f32_e32 v43, v33, v19
	v_mul_f32_e32 v2, v33, v18
	v_fmac_f32_e32 v43, v32, v18
	;; [unrolled: 5-line block ×3, first 2 shown]
	v_fma_f32 v20, v34, v21, -v2
	s_waitcnt lgkmcnt(7)
	v_mul_f32_e32 v2, v49, v24
	v_fma_f32 v33, v48, v25, -v2
	v_mul_f32_e32 v2, v51, v14
	v_fma_f32 v34, v50, v15, -v2
	s_waitcnt lgkmcnt(6)
	v_mul_f32_e32 v35, v37, v29
	v_mul_f32_e32 v2, v37, v28
	v_fmac_f32_e32 v35, v36, v28
	v_fma_f32 v28, v36, v29, -v2
	v_mul_f32_e32 v2, v39, v22
	v_mul_f32_e32 v29, v39, v23
	v_fma_f32 v36, v38, v23, -v2
	v_mul_f32_e32 v2, v57, v26
	v_mul_f32_e32 v32, v49, v25
	v_fmac_f32_e32 v29, v38, v22
	v_fma_f32 v38, v56, v27, -v2
	s_waitcnt lgkmcnt(4)
	v_mul_f32_e32 v2, v59, v72
	v_fmac_f32_e32 v32, v48, v24
	v_fma_f32 v48, v58, v73, -v2
	v_mul_f32_e32 v49, v45, v31
	v_mul_f32_e32 v2, v45, v30
	v_fmac_f32_e32 v49, v44, v30
	v_fma_f32 v44, v44, v31, -v2
	s_waitcnt lgkmcnt(3)
	v_mul_f32_e32 v2, v47, v76
	v_fma_f32 v45, v46, v77, -v2
	s_waitcnt lgkmcnt(2)
	v_mul_f32_e32 v2, v65, v80
	v_mul_f32_e32 v37, v57, v27
	;; [unrolled: 1-line block ×3, first 2 shown]
	v_fma_f32 v47, v64, v81, -v2
	v_mul_f32_e32 v2, v67, v74
	v_mul_f32_e32 v25, v51, v15
	v_fmac_f32_e32 v37, v56, v26
	v_fma_f32 v51, v66, v75, -v2
	s_waitcnt lgkmcnt(1)
	v_mul_f32_e32 v56, v53, v88
	v_mul_f32_e32 v2, v53, v87
	v_add_f32_e32 v3, v41, v43
	v_mul_f32_e32 v39, v59, v73
	v_fmac_f32_e32 v56, v52, v87
	v_fma_f32 v52, v52, v88, -v2
	v_mul_f32_e32 v53, v55, v79
	v_mul_f32_e32 v2, v55, v78
	v_fma_f32 v12, -0.5, v3, v8
	v_fmac_f32_e32 v25, v50, v14
	v_fmac_f32_e32 v39, v58, v72
	;; [unrolled: 1-line block ×3, first 2 shown]
	v_fma_f32 v54, v54, v79, -v2
	v_mul_f32_e32 v2, v69, v82
	v_mul_f32_e32 v58, v71, v17
	v_sub_f32_e32 v3, v40, v20
	v_mov_b32_e32 v14, v12
	v_fmac_f32_e32 v31, v46, v76
	v_mul_f32_e32 v46, v65, v81
	v_fma_f32 v57, v68, v83, -v2
	v_fmac_f32_e32 v58, v70, v16
	v_mul_f32_e32 v2, v71, v16
	v_fmac_f32_e32 v14, 0xbf737871, v3
	v_sub_f32_e32 v13, v42, v18
	v_sub_f32_e32 v15, v93, v41
	;; [unrolled: 1-line block ×3, first 2 shown]
	v_fmac_f32_e32 v12, 0x3f737871, v3
	v_fmac_f32_e32 v46, v64, v80
	v_fma_f32 v59, v70, v17, -v2
	v_mul_f32_e32 v64, v61, v90
	v_mul_f32_e32 v2, v61, v89
	v_fmac_f32_e32 v14, 0xbf167918, v13
	v_add_f32_e32 v15, v15, v16
	v_fmac_f32_e32 v12, 0x3f167918, v13
	v_fmac_f32_e32 v64, v60, v89
	v_fma_f32 v60, v60, v90, -v2
	s_waitcnt lgkmcnt(0)
	v_mul_f32_e32 v61, v63, v92
	v_mul_f32_e32 v2, v63, v91
	v_fmac_f32_e32 v14, 0x3e9e377a, v15
	v_fmac_f32_e32 v12, 0x3e9e377a, v15
	v_add_f32_e32 v15, v93, v19
	v_fmac_f32_e32 v61, v62, v91
	v_fma_f32 v62, v62, v92, -v2
	v_add_f32_e32 v2, v8, v93
	v_fma_f32 v8, -0.5, v15, v8
	v_mov_b32_e32 v16, v8
	v_add_f32_e32 v2, v2, v41
	v_fmac_f32_e32 v16, 0x3f737871, v13
	v_sub_f32_e32 v15, v41, v93
	v_sub_f32_e32 v17, v43, v19
	v_fmac_f32_e32 v8, 0xbf737871, v13
	v_add_f32_e32 v13, v42, v18
	v_add_f32_e32 v2, v2, v43
	v_fmac_f32_e32 v16, 0xbf167918, v3
	v_add_f32_e32 v15, v15, v17
	v_fmac_f32_e32 v8, 0x3f167918, v3
	v_fma_f32 v13, -0.5, v13, v9
	v_add_f32_e32 v2, v2, v19
	v_fmac_f32_e32 v16, 0x3e9e377a, v15
	v_fmac_f32_e32 v8, 0x3e9e377a, v15
	v_sub_f32_e32 v19, v93, v19
	v_mov_b32_e32 v15, v13
	v_fmac_f32_e32 v15, 0x3f737871, v19
	v_sub_f32_e32 v21, v41, v43
	v_sub_f32_e32 v17, v40, v42
	;; [unrolled: 1-line block ×3, first 2 shown]
	v_fmac_f32_e32 v13, 0xbf737871, v19
	v_fmac_f32_e32 v15, 0x3f167918, v21
	v_add_f32_e32 v17, v17, v22
	v_fmac_f32_e32 v13, 0xbf167918, v21
	v_fmac_f32_e32 v15, 0x3e9e377a, v17
	;; [unrolled: 1-line block ×3, first 2 shown]
	v_add_f32_e32 v17, v40, v20
	v_add_f32_e32 v3, v9, v40
	v_fma_f32 v9, -0.5, v17, v9
	v_mov_b32_e32 v17, v9
	v_add_f32_e32 v3, v3, v42
	v_fmac_f32_e32 v17, 0xbf737871, v21
	v_fmac_f32_e32 v9, 0x3f737871, v21
	v_add_f32_e32 v3, v3, v18
	v_fmac_f32_e32 v17, 0x3f167918, v19
	v_fmac_f32_e32 v9, 0xbf167918, v19
	v_add_f32_e32 v19, v25, v35
	v_add_f32_e32 v3, v3, v20
	v_sub_f32_e32 v22, v42, v40
	v_sub_f32_e32 v18, v18, v20
	v_fma_f32 v20, -0.5, v19, v10
	v_add_f32_e32 v18, v22, v18
	v_sub_f32_e32 v19, v33, v36
	v_mov_b32_e32 v22, v20
	v_fmac_f32_e32 v22, 0xbf737871, v19
	v_sub_f32_e32 v21, v34, v28
	v_sub_f32_e32 v23, v32, v25
	;; [unrolled: 1-line block ×3, first 2 shown]
	v_fmac_f32_e32 v20, 0x3f737871, v19
	v_fmac_f32_e32 v22, 0xbf167918, v21
	v_add_f32_e32 v23, v23, v24
	v_fmac_f32_e32 v20, 0x3f167918, v21
	v_fmac_f32_e32 v22, 0x3e9e377a, v23
	;; [unrolled: 1-line block ×3, first 2 shown]
	v_add_f32_e32 v23, v32, v29
	v_fmac_f32_e32 v17, 0x3e9e377a, v18
	v_fmac_f32_e32 v9, 0x3e9e377a, v18
	v_add_f32_e32 v18, v10, v32
	v_fma_f32 v10, -0.5, v23, v10
	v_mov_b32_e32 v24, v10
	v_fmac_f32_e32 v24, 0x3f737871, v21
	v_sub_f32_e32 v23, v25, v32
	v_sub_f32_e32 v26, v35, v29
	v_fmac_f32_e32 v10, 0xbf737871, v21
	v_add_f32_e32 v21, v34, v28
	v_add_f32_e32 v18, v18, v25
	v_fmac_f32_e32 v24, 0xbf167918, v19
	v_add_f32_e32 v23, v23, v26
	v_fmac_f32_e32 v10, 0x3f167918, v19
	v_fma_f32 v21, -0.5, v21, v11
	v_add_f32_e32 v18, v18, v35
	v_fmac_f32_e32 v24, 0x3e9e377a, v23
	v_fmac_f32_e32 v10, 0x3e9e377a, v23
	v_sub_f32_e32 v26, v32, v29
	v_mov_b32_e32 v23, v21
	v_add_f32_e32 v18, v18, v29
	v_fmac_f32_e32 v23, 0x3f737871, v26
	v_sub_f32_e32 v27, v25, v35
	v_sub_f32_e32 v25, v33, v34
	;; [unrolled: 1-line block ×3, first 2 shown]
	v_fmac_f32_e32 v21, 0xbf737871, v26
	v_fmac_f32_e32 v23, 0x3f167918, v27
	v_add_f32_e32 v25, v25, v29
	v_fmac_f32_e32 v21, 0xbf167918, v27
	v_fmac_f32_e32 v23, 0x3e9e377a, v25
	;; [unrolled: 1-line block ×3, first 2 shown]
	v_add_f32_e32 v25, v33, v36
	v_add_f32_e32 v19, v11, v33
	v_fmac_f32_e32 v11, -0.5, v25
	v_add_f32_e32 v19, v19, v34
	v_mov_b32_e32 v25, v11
	v_add_f32_e32 v19, v19, v28
	v_fmac_f32_e32 v25, 0xbf737871, v27
	v_sub_f32_e32 v29, v34, v33
	v_sub_f32_e32 v28, v28, v36
	v_fmac_f32_e32 v11, 0x3f737871, v27
	v_fmac_f32_e32 v25, 0x3f167918, v26
	v_add_f32_e32 v28, v29, v28
	v_fmac_f32_e32 v11, 0xbf167918, v26
	v_add_f32_e32 v27, v39, v49
	v_fmac_f32_e32 v25, 0x3e9e377a, v28
	v_fmac_f32_e32 v11, 0x3e9e377a, v28
	v_fma_f32 v28, -0.5, v27, v4
	v_sub_f32_e32 v27, v38, v45
	v_mov_b32_e32 v30, v28
	v_fmac_f32_e32 v30, 0xbf737871, v27
	v_sub_f32_e32 v29, v48, v44
	v_sub_f32_e32 v32, v37, v39
	;; [unrolled: 1-line block ×3, first 2 shown]
	v_fmac_f32_e32 v28, 0x3f737871, v27
	v_fmac_f32_e32 v30, 0xbf167918, v29
	v_add_f32_e32 v32, v32, v33
	v_fmac_f32_e32 v28, 0x3f167918, v29
	v_fmac_f32_e32 v30, 0x3e9e377a, v32
	;; [unrolled: 1-line block ×3, first 2 shown]
	v_add_f32_e32 v32, v37, v31
	v_add_f32_e32 v26, v4, v37
	v_fma_f32 v4, -0.5, v32, v4
	v_mov_b32_e32 v32, v4
	v_add_f32_e32 v26, v26, v39
	v_fmac_f32_e32 v32, 0x3f737871, v29
	v_fmac_f32_e32 v4, 0xbf737871, v29
	v_add_f32_e32 v29, v48, v44
	v_add_f32_e32 v26, v26, v49
	v_sub_f32_e32 v33, v39, v37
	v_sub_f32_e32 v34, v49, v31
	v_fma_f32 v29, -0.5, v29, v5
	v_add_f32_e32 v26, v26, v31
	v_fmac_f32_e32 v32, 0xbf167918, v27
	v_add_f32_e32 v33, v33, v34
	v_fmac_f32_e32 v4, 0x3f167918, v27
	v_sub_f32_e32 v34, v37, v31
	v_mov_b32_e32 v31, v29
	v_add_f32_e32 v19, v19, v36
	v_fmac_f32_e32 v32, 0x3e9e377a, v33
	v_fmac_f32_e32 v4, 0x3e9e377a, v33
	;; [unrolled: 1-line block ×3, first 2 shown]
	v_sub_f32_e32 v35, v39, v49
	v_sub_f32_e32 v33, v38, v48
	;; [unrolled: 1-line block ×3, first 2 shown]
	v_fmac_f32_e32 v29, 0xbf737871, v34
	v_fmac_f32_e32 v31, 0x3f167918, v35
	v_add_f32_e32 v33, v33, v36
	v_fmac_f32_e32 v29, 0xbf167918, v35
	v_fmac_f32_e32 v31, 0x3e9e377a, v33
	;; [unrolled: 1-line block ×3, first 2 shown]
	v_add_f32_e32 v33, v38, v45
	v_add_f32_e32 v27, v5, v38
	v_fma_f32 v5, -0.5, v33, v5
	v_mul_f32_e32 v50, v67, v75
	v_mov_b32_e32 v33, v5
	v_fmac_f32_e32 v50, v66, v74
	v_fmac_f32_e32 v33, 0xbf737871, v35
	v_sub_f32_e32 v36, v48, v38
	v_sub_f32_e32 v37, v44, v45
	v_fmac_f32_e32 v5, 0x3f737871, v35
	v_fmac_f32_e32 v33, 0x3f167918, v34
	v_add_f32_e32 v36, v36, v37
	v_fmac_f32_e32 v5, 0xbf167918, v34
	v_add_f32_e32 v35, v50, v56
	v_fmac_f32_e32 v33, 0x3e9e377a, v36
	v_fmac_f32_e32 v5, 0x3e9e377a, v36
	v_fma_f32 v36, -0.5, v35, v6
	v_sub_f32_e32 v35, v47, v54
	v_mov_b32_e32 v38, v36
	v_fmac_f32_e32 v38, 0xbf737871, v35
	v_sub_f32_e32 v37, v51, v52
	v_sub_f32_e32 v39, v46, v50
	;; [unrolled: 1-line block ×3, first 2 shown]
	v_fmac_f32_e32 v36, 0x3f737871, v35
	v_fmac_f32_e32 v38, 0xbf167918, v37
	v_add_f32_e32 v39, v39, v40
	v_fmac_f32_e32 v36, 0x3f167918, v37
	v_fmac_f32_e32 v38, 0x3e9e377a, v39
	;; [unrolled: 1-line block ×3, first 2 shown]
	v_add_f32_e32 v39, v46, v53
	v_add_f32_e32 v34, v6, v46
	v_fma_f32 v6, -0.5, v39, v6
	v_mov_b32_e32 v40, v6
	v_fmac_f32_e32 v40, 0x3f737871, v37
	v_sub_f32_e32 v39, v50, v46
	v_sub_f32_e32 v41, v56, v53
	v_fmac_f32_e32 v6, 0xbf737871, v37
	v_add_f32_e32 v37, v51, v52
	v_fmac_f32_e32 v40, 0xbf167918, v35
	v_add_f32_e32 v39, v39, v41
	v_fmac_f32_e32 v6, 0x3f167918, v35
	v_fma_f32 v37, -0.5, v37, v7
	v_add_f32_e32 v27, v27, v48
	v_fmac_f32_e32 v40, 0x3e9e377a, v39
	v_fmac_f32_e32 v6, 0x3e9e377a, v39
	v_sub_f32_e32 v42, v46, v53
	v_mov_b32_e32 v39, v37
	v_add_f32_e32 v27, v27, v44
	v_fmac_f32_e32 v39, 0x3f737871, v42
	v_sub_f32_e32 v43, v50, v56
	v_sub_f32_e32 v41, v47, v51
	;; [unrolled: 1-line block ×3, first 2 shown]
	v_fmac_f32_e32 v37, 0xbf737871, v42
	v_fmac_f32_e32 v39, 0x3f167918, v43
	v_add_f32_e32 v41, v41, v44
	v_fmac_f32_e32 v37, 0xbf167918, v43
	v_fmac_f32_e32 v39, 0x3e9e377a, v41
	;; [unrolled: 1-line block ×3, first 2 shown]
	v_add_f32_e32 v41, v47, v54
	v_add_f32_e32 v35, v7, v47
	v_fmac_f32_e32 v7, -0.5, v41
	v_mov_b32_e32 v41, v7
	v_add_f32_e32 v27, v27, v45
	v_fmac_f32_e32 v41, 0xbf737871, v43
	v_sub_f32_e32 v44, v51, v47
	v_sub_f32_e32 v45, v52, v54
	v_fmac_f32_e32 v7, 0x3f737871, v43
	v_fmac_f32_e32 v41, 0x3f167918, v42
	v_add_f32_e32 v44, v44, v45
	v_fmac_f32_e32 v7, 0xbf167918, v42
	v_add_f32_e32 v43, v58, v64
	v_mul_f32_e32 v55, v69, v83
	v_fmac_f32_e32 v41, 0x3e9e377a, v44
	v_fmac_f32_e32 v7, 0x3e9e377a, v44
	v_fma_f32 v44, -0.5, v43, v0
	v_fmac_f32_e32 v55, v68, v82
	v_sub_f32_e32 v43, v57, v62
	v_mov_b32_e32 v46, v44
	v_fmac_f32_e32 v46, 0xbf737871, v43
	v_sub_f32_e32 v45, v59, v60
	v_sub_f32_e32 v47, v55, v58
	;; [unrolled: 1-line block ×3, first 2 shown]
	v_fmac_f32_e32 v44, 0x3f737871, v43
	v_fmac_f32_e32 v46, 0xbf167918, v45
	v_add_f32_e32 v47, v47, v48
	v_fmac_f32_e32 v44, 0x3f167918, v45
	v_fmac_f32_e32 v46, 0x3e9e377a, v47
	;; [unrolled: 1-line block ×3, first 2 shown]
	v_add_f32_e32 v47, v55, v61
	v_add_f32_e32 v42, v0, v55
	v_fma_f32 v0, -0.5, v47, v0
	v_mov_b32_e32 v48, v0
	v_fmac_f32_e32 v48, 0x3f737871, v45
	v_sub_f32_e32 v47, v58, v55
	v_sub_f32_e32 v49, v64, v61
	v_fmac_f32_e32 v0, 0xbf737871, v45
	v_add_f32_e32 v45, v59, v60
	v_fmac_f32_e32 v48, 0xbf167918, v43
	v_add_f32_e32 v47, v47, v49
	v_fmac_f32_e32 v0, 0x3f167918, v43
	v_fma_f32 v45, -0.5, v45, v1
	v_add_f32_e32 v34, v34, v50
	v_add_f32_e32 v35, v35, v51
	v_fmac_f32_e32 v48, 0x3e9e377a, v47
	v_fmac_f32_e32 v0, 0x3e9e377a, v47
	v_sub_f32_e32 v50, v55, v61
	v_mov_b32_e32 v47, v45
	v_add_f32_e32 v35, v35, v52
	v_fmac_f32_e32 v47, 0x3f737871, v50
	v_sub_f32_e32 v51, v58, v64
	v_sub_f32_e32 v49, v57, v59
	;; [unrolled: 1-line block ×3, first 2 shown]
	v_fmac_f32_e32 v45, 0xbf737871, v50
	v_fmac_f32_e32 v47, 0x3f167918, v51
	v_add_f32_e32 v49, v49, v52
	v_fmac_f32_e32 v45, 0xbf167918, v51
	v_fmac_f32_e32 v47, 0x3e9e377a, v49
	;; [unrolled: 1-line block ×3, first 2 shown]
	v_add_f32_e32 v49, v57, v62
	v_add_f32_e32 v43, v1, v57
	v_fmac_f32_e32 v1, -0.5, v49
	v_add_f32_e32 v34, v34, v56
	v_mov_b32_e32 v49, v1
	v_add_f32_e32 v34, v34, v53
	v_add_f32_e32 v42, v42, v58
	;; [unrolled: 1-line block ×3, first 2 shown]
	v_fmac_f32_e32 v49, 0xbf737871, v51
	v_sub_f32_e32 v52, v59, v57
	v_sub_f32_e32 v53, v60, v62
	v_fmac_f32_e32 v1, 0x3f737871, v51
	v_add_f32_e32 v42, v42, v64
	v_add_f32_e32 v43, v43, v60
	v_fmac_f32_e32 v49, 0x3f167918, v50
	v_add_f32_e32 v52, v52, v53
	v_fmac_f32_e32 v1, 0xbf167918, v50
	ds_write_b64 v154, v[2:3]
	ds_write2_b64 v157, v[14:15], v[22:23] offset0:65 offset1:78
	ds_write2_b64 v157, v[16:17], v[24:25] offset0:130 offset1:143
	;; [unrolled: 1-line block ×3, first 2 shown]
	v_add_u32_e32 v2, 0x800, v157
	v_add_f32_e32 v35, v35, v54
	v_add_f32_e32 v42, v42, v61
	;; [unrolled: 1-line block ×3, first 2 shown]
	v_fmac_f32_e32 v49, 0x3e9e377a, v52
	v_fmac_f32_e32 v1, 0x3e9e377a, v52
	ds_write2_b64 v2, v[12:13], v[20:21] offset0:4 offset1:17
	ds_write2_b64 v157, v[18:19], v[26:27] offset0:13 offset1:26
	;; [unrolled: 1-line block ×8, first 2 shown]
	v_add_u32_e32 v2, 0x400, v162
	ds_write2_b64 v2, v[0:1], v[44:45] offset0:67 offset1:132
	s_waitcnt lgkmcnt(0)
	; wave barrier
	s_waitcnt lgkmcnt(0)
	ds_read2_b64 v[0:3], v154 offset1:25
	s_mov_b32 s2, 0x7f9b2ce6
	s_mov_b32 s3, 0x3f6934c6
	v_mad_u64_u32 v[84:85], s[0:1], s10, v134, 0
	s_waitcnt lgkmcnt(0)
	v_mul_f32_e32 v5, v148, v1
	v_fmac_f32_e32 v5, v147, v0
	v_cvt_f64_f32_e32 v[5:6], v5
	v_mul_f32_e32 v0, v148, v0
	v_fma_f32 v0, v147, v1, -v0
	v_cvt_f64_f32_e32 v[0:1], v0
	v_mul_f64 v[5:6], v[5:6], s[2:3]
	v_mad_u64_u32 v[7:8], s[0:1], s8, v153, 0
	v_mov_b32_e32 v4, v85
	v_mul_f64 v[0:1], v[0:1], s[2:3]
	v_mad_u64_u32 v[9:10], s[0:1], s11, v134, v[4:5]
	v_mov_b32_e32 v4, v8
	v_mad_u64_u32 v[10:11], s[0:1], s9, v153, v[4:5]
	v_mov_b32_e32 v85, v9
	v_mul_f32_e32 v9, v146, v3
	v_fmac_f32_e32 v9, v145, v2
	v_mul_f32_e32 v2, v146, v2
	v_fma_f32 v2, v145, v3, -v2
	v_cvt_f32_f64_e32 v4, v[5:6]
	v_cvt_f32_f64_e32 v5, v[0:1]
	v_mov_b32_e32 v8, v10
	v_lshlrev_b64 v[0:1], 3, v[84:85]
	v_cvt_f64_f32_e32 v[9:10], v9
	v_cvt_f64_f32_e32 v[11:12], v2
	v_mov_b32_e32 v6, s7
	v_add_co_u32_e64 v2, s[0:1], s6, v0
	v_addc_co_u32_e64 v3, s[0:1], v6, v1, s[0:1]
	v_lshlrev_b64 v[6:7], 3, v[7:8]
	v_mul_f64 v[0:1], v[9:10], s[2:3]
	v_mul_f64 v[8:9], v[11:12], s[2:3]
	v_add_co_u32_e64 v10, s[0:1], v2, v6
	v_addc_co_u32_e64 v11, s[0:1], v3, v7, s[0:1]
	global_store_dwordx2 v[10:11], v[4:5], off
	ds_read2_b64 v[4:7], v154 offset0:50 offset1:75
	v_cvt_f32_f64_e32 v0, v[0:1]
	v_cvt_f32_f64_e32 v1, v[8:9]
	s_mul_i32 s0, s9, 25
	s_mul_hi_u32 s1, s8, 25
	s_waitcnt lgkmcnt(0)
	v_mul_f32_e32 v8, v144, v5
	v_fmac_f32_e32 v8, v143, v4
	v_mul_f32_e32 v4, v144, v4
	v_fma_f32 v4, v143, v5, -v4
	v_cvt_f64_f32_e32 v[4:5], v4
	v_cvt_f64_f32_e32 v[8:9], v8
	s_add_i32 s1, s1, s0
	s_mul_i32 s0, s8, 25
	v_mul_f64 v[4:5], v[4:5], s[2:3]
	v_mul_f64 v[8:9], v[8:9], s[2:3]
	s_lshl_b64 s[4:5], s[0:1], 3
	v_mov_b32_e32 v17, s5
	v_add_co_u32_e64 v10, s[0:1], s4, v10
	v_addc_co_u32_e64 v11, s[0:1], v11, v17, s[0:1]
	global_store_dwordx2 v[10:11], v[0:1], off
	v_cvt_f32_f64_e32 v1, v[4:5]
	v_mul_f32_e32 v4, v140, v7
	v_fmac_f32_e32 v4, v139, v6
	v_cvt_f32_f64_e32 v0, v[8:9]
	v_cvt_f64_f32_e32 v[8:9], v4
	v_mul_f32_e32 v4, v140, v6
	v_fma_f32 v4, v139, v7, -v4
	v_cvt_f64_f32_e32 v[12:13], v4
	ds_read2_b64 v[4:7], v154 offset0:100 offset1:125
	v_mul_f64 v[8:9], v[8:9], s[2:3]
	v_add_co_u32_e64 v10, s[0:1], s4, v10
	v_mul_f64 v[12:13], v[12:13], s[2:3]
	s_waitcnt lgkmcnt(0)
	v_mul_f32_e32 v14, v138, v5
	v_fmac_f32_e32 v14, v137, v4
	v_mul_f32_e32 v4, v138, v4
	v_fma_f32 v4, v137, v5, -v4
	v_cvt_f64_f32_e32 v[4:5], v4
	v_cvt_f64_f32_e32 v[14:15], v14
	v_addc_co_u32_e64 v11, s[0:1], v11, v17, s[0:1]
	v_mul_f64 v[4:5], v[4:5], s[2:3]
	global_store_dwordx2 v[10:11], v[0:1], off
	v_cvt_f32_f64_e32 v0, v[8:9]
	v_mul_f64 v[8:9], v[14:15], s[2:3]
	v_cvt_f32_f64_e32 v1, v[12:13]
	v_add_co_u32_e64 v10, s[0:1], s4, v10
	v_addc_co_u32_e64 v11, s[0:1], v11, v17, s[0:1]
	global_store_dwordx2 v[10:11], v[0:1], off
	v_cvt_f32_f64_e32 v1, v[4:5]
	v_mul_f32_e32 v4, v142, v7
	v_fmac_f32_e32 v4, v141, v6
	v_cvt_f32_f64_e32 v0, v[8:9]
	v_cvt_f64_f32_e32 v[8:9], v4
	v_mul_f32_e32 v4, v142, v6
	v_fma_f32 v4, v141, v7, -v4
	v_cvt_f64_f32_e32 v[12:13], v4
	ds_read2_b64 v[4:7], v154 offset0:150 offset1:175
	v_mul_f64 v[8:9], v[8:9], s[2:3]
	v_add_co_u32_e64 v10, s[0:1], s4, v10
	v_mul_f64 v[12:13], v[12:13], s[2:3]
	s_waitcnt lgkmcnt(0)
	v_mul_f32_e32 v14, v136, v5
	v_fmac_f32_e32 v14, v135, v4
	v_mul_f32_e32 v4, v136, v4
	v_fma_f32 v4, v135, v5, -v4
	v_cvt_f64_f32_e32 v[4:5], v4
	v_cvt_f64_f32_e32 v[14:15], v14
	v_addc_co_u32_e64 v11, s[0:1], v11, v17, s[0:1]
	v_mul_f64 v[4:5], v[4:5], s[2:3]
	global_store_dwordx2 v[10:11], v[0:1], off
	v_cvt_f32_f64_e32 v0, v[8:9]
	v_mul_f64 v[8:9], v[14:15], s[2:3]
	v_cvt_f32_f64_e32 v1, v[12:13]
	v_add_co_u32_e64 v10, s[0:1], s4, v10
	v_addc_co_u32_e64 v11, s[0:1], v11, v17, s[0:1]
	global_store_dwordx2 v[10:11], v[0:1], off
	v_cvt_f32_f64_e32 v1, v[4:5]
	v_mul_f32_e32 v4, v131, v7
	v_fmac_f32_e32 v4, v130, v6
	v_cvt_f32_f64_e32 v0, v[8:9]
	v_cvt_f64_f32_e32 v[8:9], v4
	v_mul_f32_e32 v4, v131, v6
	v_fma_f32 v4, v130, v7, -v4
	v_cvt_f64_f32_e32 v[12:13], v4
	ds_read2_b64 v[4:7], v154 offset0:200 offset1:225
	v_mul_f64 v[8:9], v[8:9], s[2:3]
	v_add_co_u32_e64 v10, s[0:1], s4, v10
	v_mul_f64 v[12:13], v[12:13], s[2:3]
	s_waitcnt lgkmcnt(0)
	v_mul_f32_e32 v14, v133, v5
	v_fmac_f32_e32 v14, v132, v4
	v_mul_f32_e32 v4, v133, v4
	v_fma_f32 v4, v132, v5, -v4
	v_cvt_f64_f32_e32 v[4:5], v4
	v_cvt_f64_f32_e32 v[14:15], v14
	v_addc_co_u32_e64 v11, s[0:1], v11, v17, s[0:1]
	v_mul_f64 v[4:5], v[4:5], s[2:3]
	global_store_dwordx2 v[10:11], v[0:1], off
	v_cvt_f32_f64_e32 v0, v[8:9]
	v_cvt_f32_f64_e32 v1, v[12:13]
	v_mul_f64 v[8:9], v[14:15], s[2:3]
	v_add_co_u32_e64 v10, s[0:1], s4, v10
	v_addc_co_u32_e64 v11, s[0:1], v11, v17, s[0:1]
	global_store_dwordx2 v[10:11], v[0:1], off
	v_cvt_f32_f64_e32 v1, v[4:5]
	v_mul_f32_e32 v4, v129, v7
	v_fmac_f32_e32 v4, v128, v6
	v_cvt_f64_f32_e32 v[12:13], v4
	v_mul_f32_e32 v4, v129, v6
	v_fma_f32 v4, v128, v7, -v4
	v_cvt_f64_f32_e32 v[14:15], v4
	v_add_u32_e32 v4, 0x400, v154
	v_cvt_f32_f64_e32 v0, v[8:9]
	ds_read2_b64 v[5:8], v4 offset0:122 offset1:147
	v_add_co_u32_e64 v9, s[0:1], s4, v10
	v_addc_co_u32_e64 v10, s[0:1], v11, v17, s[0:1]
	v_mul_f64 v[11:12], v[12:13], s[2:3]
	v_mul_f64 v[13:14], v[14:15], s[2:3]
	s_waitcnt lgkmcnt(0)
	v_mul_f32_e32 v15, v127, v6
	v_fmac_f32_e32 v15, v126, v5
	v_mul_f32_e32 v5, v127, v5
	v_fma_f32 v5, v126, v6, -v5
	v_cvt_f64_f32_e32 v[5:6], v5
	v_cvt_f64_f32_e32 v[15:16], v15
	global_store_dwordx2 v[9:10], v[0:1], off
	v_cvt_f32_f64_e32 v0, v[11:12]
	v_mul_f64 v[5:6], v[5:6], s[2:3]
	v_mul_f64 v[11:12], v[15:16], s[2:3]
	v_cvt_f32_f64_e32 v1, v[13:14]
	v_add_co_u32_e64 v9, s[0:1], s4, v9
	v_addc_co_u32_e64 v10, s[0:1], v10, v17, s[0:1]
	global_store_dwordx2 v[9:10], v[0:1], off
	v_cvt_f32_f64_e32 v1, v[5:6]
	v_mul_f32_e32 v5, v125, v8
	v_fmac_f32_e32 v5, v124, v7
	v_cvt_f32_f64_e32 v0, v[11:12]
	v_cvt_f64_f32_e32 v[5:6], v5
	ds_read_b64 v[11:12], v154 offset:2400
	v_mul_f32_e32 v7, v125, v7
	v_fma_f32 v7, v124, v8, -v7
	v_mul_f64 v[5:6], v[5:6], s[2:3]
	v_cvt_f64_f32_e32 v[7:8], v7
	s_waitcnt lgkmcnt(0)
	v_mul_f32_e32 v13, v123, v12
	v_fmac_f32_e32 v13, v122, v11
	v_mul_f32_e32 v11, v123, v11
	v_fma_f32 v11, v122, v12, -v11
	v_cvt_f64_f32_e32 v[13:14], v13
	v_cvt_f64_f32_e32 v[11:12], v11
	v_add_co_u32_e64 v9, s[0:1], s4, v9
	v_mul_f64 v[7:8], v[7:8], s[2:3]
	v_addc_co_u32_e64 v10, s[0:1], v10, v17, s[0:1]
	global_store_dwordx2 v[9:10], v[0:1], off
	v_cvt_f32_f64_e32 v0, v[5:6]
	v_mul_f64 v[5:6], v[13:14], s[2:3]
	v_mul_f64 v[11:12], v[11:12], s[2:3]
	v_cvt_f32_f64_e32 v1, v[7:8]
	v_add_co_u32_e64 v7, s[0:1], s4, v9
	v_addc_co_u32_e64 v8, s[0:1], v10, v17, s[0:1]
	v_cvt_f32_f64_e32 v5, v[5:6]
	v_cvt_f32_f64_e32 v6, v[11:12]
	global_store_dwordx2 v[7:8], v[0:1], off
	v_add_co_u32_e64 v0, s[0:1], s4, v7
	v_addc_co_u32_e64 v1, s[0:1], v8, v17, s[0:1]
	global_store_dwordx2 v[0:1], v[5:6], off
	s_and_b64 exec, exec, vcc
	s_cbranch_execz .LBB0_15
; %bb.14:
	global_load_dwordx2 v[5:6], v[120:121], off offset:104
	ds_read_b64 v[7:8], v157 offset:104
	s_waitcnt vmcnt(0) lgkmcnt(0)
	v_mul_f32_e32 v9, v8, v6
	v_mul_f32_e32 v6, v7, v6
	v_fmac_f32_e32 v9, v7, v5
	v_fma_f32 v7, v5, v8, -v6
	v_cvt_f64_f32_e32 v[5:6], v9
	v_cvt_f64_f32_e32 v[7:8], v7
	v_mov_b32_e32 v9, 0xfffff708
	v_mad_u64_u32 v[0:1], s[0:1], s8, v9, v[0:1]
	v_mul_f64 v[5:6], v[5:6], s[2:3]
	v_mul_f64 v[7:8], v[7:8], s[2:3]
	s_mul_i32 s0, s9, 0xfffff708
	s_sub_i32 s0, s0, s8
	v_add_u32_e32 v1, s0, v1
	v_cvt_f32_f64_e32 v5, v[5:6]
	v_cvt_f32_f64_e32 v6, v[7:8]
	global_store_dwordx2 v[0:1], v[5:6], off
	global_load_dwordx2 v[9:10], v[120:121], off offset:304
	ds_read2_b64 v[5:8], v154 offset0:38 offset1:63
	v_add_co_u32_e32 v0, vcc, s4, v0
	s_waitcnt vmcnt(0) lgkmcnt(0)
	v_mul_f32_e32 v11, v6, v10
	v_mul_f32_e32 v10, v5, v10
	v_fmac_f32_e32 v11, v5, v9
	v_fma_f32 v9, v9, v6, -v10
	v_cvt_f64_f32_e32 v[5:6], v11
	v_cvt_f64_f32_e32 v[9:10], v9
	v_mov_b32_e32 v11, s5
	v_addc_co_u32_e32 v1, vcc, v1, v11, vcc
	v_mul_f64 v[5:6], v[5:6], s[2:3]
	v_mul_f64 v[9:10], v[9:10], s[2:3]
	v_cvt_f32_f64_e32 v5, v[5:6]
	v_cvt_f32_f64_e32 v6, v[9:10]
	global_store_dwordx2 v[0:1], v[5:6], off
	global_load_dwordx2 v[5:6], v[120:121], off offset:504
	v_add_co_u32_e32 v0, vcc, s4, v0
	v_addc_co_u32_e32 v1, vcc, v1, v11, vcc
	s_waitcnt vmcnt(0)
	v_mul_f32_e32 v9, v8, v6
	v_mul_f32_e32 v6, v7, v6
	v_fmac_f32_e32 v9, v7, v5
	v_fma_f32 v7, v5, v8, -v6
	v_cvt_f64_f32_e32 v[5:6], v9
	v_cvt_f64_f32_e32 v[7:8], v7
	v_mul_f64 v[5:6], v[5:6], s[2:3]
	v_mul_f64 v[7:8], v[7:8], s[2:3]
	v_cvt_f32_f64_e32 v5, v[5:6]
	v_cvt_f32_f64_e32 v6, v[7:8]
	global_store_dwordx2 v[0:1], v[5:6], off
	global_load_dwordx2 v[9:10], v[120:121], off offset:704
	ds_read2_b64 v[5:8], v154 offset0:88 offset1:113
	v_add_co_u32_e32 v0, vcc, s4, v0
	v_addc_co_u32_e32 v1, vcc, v1, v11, vcc
	s_waitcnt vmcnt(0) lgkmcnt(0)
	v_mul_f32_e32 v12, v6, v10
	v_mul_f32_e32 v10, v5, v10
	v_fmac_f32_e32 v12, v5, v9
	v_fma_f32 v9, v9, v6, -v10
	v_cvt_f64_f32_e32 v[5:6], v12
	v_cvt_f64_f32_e32 v[9:10], v9
	v_mul_f64 v[5:6], v[5:6], s[2:3]
	v_mul_f64 v[9:10], v[9:10], s[2:3]
	v_cvt_f32_f64_e32 v5, v[5:6]
	v_cvt_f32_f64_e32 v6, v[9:10]
	global_store_dwordx2 v[0:1], v[5:6], off
	global_load_dwordx2 v[5:6], v[120:121], off offset:904
	v_add_co_u32_e32 v0, vcc, s4, v0
	v_addc_co_u32_e32 v1, vcc, v1, v11, vcc
	s_waitcnt vmcnt(0)
	v_mul_f32_e32 v9, v8, v6
	v_mul_f32_e32 v6, v7, v6
	v_fmac_f32_e32 v9, v7, v5
	v_fma_f32 v7, v5, v8, -v6
	v_cvt_f64_f32_e32 v[5:6], v9
	v_cvt_f64_f32_e32 v[7:8], v7
	v_mul_f64 v[5:6], v[5:6], s[2:3]
	v_mul_f64 v[7:8], v[7:8], s[2:3]
	v_cvt_f32_f64_e32 v5, v[5:6]
	v_cvt_f32_f64_e32 v6, v[7:8]
	global_store_dwordx2 v[0:1], v[5:6], off
	global_load_dwordx2 v[9:10], v[120:121], off offset:1104
	ds_read2_b64 v[5:8], v154 offset0:138 offset1:163
	v_add_co_u32_e32 v0, vcc, s4, v0
	v_addc_co_u32_e32 v1, vcc, v1, v11, vcc
	s_waitcnt vmcnt(0) lgkmcnt(0)
	v_mul_f32_e32 v12, v6, v10
	v_mul_f32_e32 v10, v5, v10
	v_fmac_f32_e32 v12, v5, v9
	v_fma_f32 v9, v9, v6, -v10
	v_cvt_f64_f32_e32 v[5:6], v12
	v_cvt_f64_f32_e32 v[9:10], v9
	;; [unrolled: 31-line block ×3, first 2 shown]
	v_or_b32_e32 v12, 0x120, v153
	v_mul_f64 v[5:6], v[5:6], s[2:3]
	v_mul_f64 v[9:10], v[9:10], s[2:3]
	v_cvt_f32_f64_e32 v5, v[5:6]
	v_cvt_f32_f64_e32 v6, v[9:10]
	global_store_dwordx2 v[0:1], v[5:6], off
	global_load_dwordx2 v[5:6], v[120:121], off offset:1704
	v_add_co_u32_e32 v0, vcc, s4, v0
	v_addc_co_u32_e32 v1, vcc, v1, v11, vcc
	s_waitcnt vmcnt(0)
	v_mul_f32_e32 v9, v8, v6
	v_mul_f32_e32 v6, v7, v6
	v_fmac_f32_e32 v9, v7, v5
	v_fma_f32 v7, v5, v8, -v6
	v_cvt_f64_f32_e32 v[5:6], v9
	v_cvt_f64_f32_e32 v[7:8], v7
	v_mul_f64 v[5:6], v[5:6], s[2:3]
	v_mul_f64 v[7:8], v[7:8], s[2:3]
	v_cvt_f32_f64_e32 v5, v[5:6]
	v_cvt_f32_f64_e32 v6, v[7:8]
	global_store_dwordx2 v[0:1], v[5:6], off
	global_load_dwordx2 v[8:9], v[120:121], off offset:1904
	ds_read2_b64 v[4:7], v4 offset0:110 offset1:135
	v_add_co_u32_e32 v0, vcc, s4, v0
	v_addc_co_u32_e32 v1, vcc, v1, v11, vcc
	s_waitcnt vmcnt(0) lgkmcnt(0)
	v_mul_f32_e32 v10, v5, v9
	v_mul_f32_e32 v9, v4, v9
	v_fmac_f32_e32 v10, v4, v8
	v_fma_f32 v8, v8, v5, -v9
	v_cvt_f64_f32_e32 v[4:5], v10
	v_cvt_f64_f32_e32 v[8:9], v8
	v_mul_f64 v[4:5], v[4:5], s[2:3]
	v_mul_f64 v[8:9], v[8:9], s[2:3]
	v_cvt_f32_f64_e32 v4, v[4:5]
	v_cvt_f32_f64_e32 v5, v[8:9]
	global_store_dwordx2 v[0:1], v[4:5], off
	global_load_dwordx2 v[4:5], v[120:121], off offset:2104
	v_add_co_u32_e32 v0, vcc, s4, v0
	v_addc_co_u32_e32 v1, vcc, v1, v11, vcc
	v_mad_u64_u32 v[10:11], s[0:1], s8, v12, 0
	v_mad_u64_u32 v[11:12], s[0:1], s9, v12, v[11:12]
	v_lshlrev_b64 v[10:11], 3, v[10:11]
	v_add_co_u32_e32 v2, vcc, v2, v10
	v_addc_co_u32_e32 v3, vcc, v3, v11, vcc
	s_waitcnt vmcnt(0)
	v_mul_f32_e32 v8, v7, v5
	v_mul_f32_e32 v5, v6, v5
	v_fmac_f32_e32 v8, v6, v4
	v_fma_f32 v6, v4, v7, -v5
	v_cvt_f64_f32_e32 v[4:5], v8
	v_cvt_f64_f32_e32 v[6:7], v6
	v_mul_f64 v[4:5], v[4:5], s[2:3]
	v_mul_f64 v[6:7], v[6:7], s[2:3]
	v_cvt_f32_f64_e32 v4, v[4:5]
	v_cvt_f32_f64_e32 v5, v[6:7]
	global_store_dwordx2 v[0:1], v[4:5], off
	global_load_dwordx2 v[8:9], v[120:121], off offset:2304
	ds_read2_b64 v[4:7], v86 offset0:32 offset1:57
	s_waitcnt vmcnt(0) lgkmcnt(0)
	v_mul_f32_e32 v13, v5, v9
	v_mul_f32_e32 v9, v4, v9
	v_fmac_f32_e32 v13, v4, v8
	v_fma_f32 v8, v8, v5, -v9
	v_cvt_f64_f32_e32 v[4:5], v13
	v_cvt_f64_f32_e32 v[8:9], v8
	v_mul_f64 v[4:5], v[4:5], s[2:3]
	v_mul_f64 v[8:9], v[8:9], s[2:3]
	v_cvt_f32_f64_e32 v4, v[4:5]
	v_cvt_f32_f64_e32 v5, v[8:9]
	global_store_dwordx2 v[2:3], v[4:5], off
	global_load_dwordx2 v[2:3], v[120:121], off offset:2504
	s_waitcnt vmcnt(0)
	v_mul_f32_e32 v4, v7, v3
	v_mul_f32_e32 v3, v6, v3
	v_fmac_f32_e32 v4, v6, v2
	v_fma_f32 v5, v2, v7, -v3
	v_cvt_f64_f32_e32 v[2:3], v4
	v_cvt_f64_f32_e32 v[4:5], v5
	v_mov_b32_e32 v6, 0x190
	v_mad_u64_u32 v[0:1], s[0:1], s8, v6, v[0:1]
	v_mul_f64 v[2:3], v[2:3], s[2:3]
	v_mul_f64 v[4:5], v[4:5], s[2:3]
	s_mul_i32 s0, s9, 0x190
	v_add_u32_e32 v1, s0, v1
	v_cvt_f32_f64_e32 v2, v[2:3]
	v_cvt_f32_f64_e32 v3, v[4:5]
	global_store_dwordx2 v[0:1], v[2:3], off
.LBB0_15:
	s_endpgm
	.section	.rodata,"a",@progbits
	.p2align	6, 0x0
	.amdhsa_kernel bluestein_single_fwd_len325_dim1_sp_op_CI_CI
		.amdhsa_group_segment_fixed_size 10400
		.amdhsa_private_segment_fixed_size 0
		.amdhsa_kernarg_size 104
		.amdhsa_user_sgpr_count 6
		.amdhsa_user_sgpr_private_segment_buffer 1
		.amdhsa_user_sgpr_dispatch_ptr 0
		.amdhsa_user_sgpr_queue_ptr 0
		.amdhsa_user_sgpr_kernarg_segment_ptr 1
		.amdhsa_user_sgpr_dispatch_id 0
		.amdhsa_user_sgpr_flat_scratch_init 0
		.amdhsa_user_sgpr_private_segment_size 0
		.amdhsa_uses_dynamic_stack 0
		.amdhsa_system_sgpr_private_segment_wavefront_offset 0
		.amdhsa_system_sgpr_workgroup_id_x 1
		.amdhsa_system_sgpr_workgroup_id_y 0
		.amdhsa_system_sgpr_workgroup_id_z 0
		.amdhsa_system_sgpr_workgroup_info 0
		.amdhsa_system_vgpr_workitem_id 0
		.amdhsa_next_free_vgpr 233
		.amdhsa_next_free_sgpr 18
		.amdhsa_reserve_vcc 1
		.amdhsa_reserve_flat_scratch 0
		.amdhsa_float_round_mode_32 0
		.amdhsa_float_round_mode_16_64 0
		.amdhsa_float_denorm_mode_32 3
		.amdhsa_float_denorm_mode_16_64 3
		.amdhsa_dx10_clamp 1
		.amdhsa_ieee_mode 1
		.amdhsa_fp16_overflow 0
		.amdhsa_exception_fp_ieee_invalid_op 0
		.amdhsa_exception_fp_denorm_src 0
		.amdhsa_exception_fp_ieee_div_zero 0
		.amdhsa_exception_fp_ieee_overflow 0
		.amdhsa_exception_fp_ieee_underflow 0
		.amdhsa_exception_fp_ieee_inexact 0
		.amdhsa_exception_int_div_zero 0
	.end_amdhsa_kernel
	.text
.Lfunc_end0:
	.size	bluestein_single_fwd_len325_dim1_sp_op_CI_CI, .Lfunc_end0-bluestein_single_fwd_len325_dim1_sp_op_CI_CI
                                        ; -- End function
	.section	.AMDGPU.csdata,"",@progbits
; Kernel info:
; codeLenInByte = 26992
; NumSgprs: 22
; NumVgprs: 233
; ScratchSize: 0
; MemoryBound: 0
; FloatMode: 240
; IeeeMode: 1
; LDSByteSize: 10400 bytes/workgroup (compile time only)
; SGPRBlocks: 2
; VGPRBlocks: 58
; NumSGPRsForWavesPerEU: 22
; NumVGPRsForWavesPerEU: 233
; Occupancy: 1
; WaveLimiterHint : 1
; COMPUTE_PGM_RSRC2:SCRATCH_EN: 0
; COMPUTE_PGM_RSRC2:USER_SGPR: 6
; COMPUTE_PGM_RSRC2:TRAP_HANDLER: 0
; COMPUTE_PGM_RSRC2:TGID_X_EN: 1
; COMPUTE_PGM_RSRC2:TGID_Y_EN: 0
; COMPUTE_PGM_RSRC2:TGID_Z_EN: 0
; COMPUTE_PGM_RSRC2:TIDIG_COMP_CNT: 0
	.type	__hip_cuid_1485bd55e3e7c811,@object ; @__hip_cuid_1485bd55e3e7c811
	.section	.bss,"aw",@nobits
	.globl	__hip_cuid_1485bd55e3e7c811
__hip_cuid_1485bd55e3e7c811:
	.byte	0                               ; 0x0
	.size	__hip_cuid_1485bd55e3e7c811, 1

	.ident	"AMD clang version 19.0.0git (https://github.com/RadeonOpenCompute/llvm-project roc-6.4.0 25133 c7fe45cf4b819c5991fe208aaa96edf142730f1d)"
	.section	".note.GNU-stack","",@progbits
	.addrsig
	.addrsig_sym __hip_cuid_1485bd55e3e7c811
	.amdgpu_metadata
---
amdhsa.kernels:
  - .args:
      - .actual_access:  read_only
        .address_space:  global
        .offset:         0
        .size:           8
        .value_kind:     global_buffer
      - .actual_access:  read_only
        .address_space:  global
        .offset:         8
        .size:           8
        .value_kind:     global_buffer
      - .actual_access:  read_only
        .address_space:  global
        .offset:         16
        .size:           8
        .value_kind:     global_buffer
      - .actual_access:  read_only
        .address_space:  global
        .offset:         24
        .size:           8
        .value_kind:     global_buffer
      - .actual_access:  read_only
        .address_space:  global
        .offset:         32
        .size:           8
        .value_kind:     global_buffer
      - .offset:         40
        .size:           8
        .value_kind:     by_value
      - .address_space:  global
        .offset:         48
        .size:           8
        .value_kind:     global_buffer
      - .address_space:  global
        .offset:         56
        .size:           8
        .value_kind:     global_buffer
      - .address_space:  global
        .offset:         64
        .size:           8
        .value_kind:     global_buffer
      - .address_space:  global
        .offset:         72
        .size:           8
        .value_kind:     global_buffer
      - .offset:         80
        .size:           4
        .value_kind:     by_value
      - .address_space:  global
        .offset:         88
        .size:           8
        .value_kind:     global_buffer
      - .address_space:  global
        .offset:         96
        .size:           8
        .value_kind:     global_buffer
    .group_segment_fixed_size: 10400
    .kernarg_segment_align: 8
    .kernarg_segment_size: 104
    .language:       OpenCL C
    .language_version:
      - 2
      - 0
    .max_flat_workgroup_size: 52
    .name:           bluestein_single_fwd_len325_dim1_sp_op_CI_CI
    .private_segment_fixed_size: 0
    .sgpr_count:     22
    .sgpr_spill_count: 0
    .symbol:         bluestein_single_fwd_len325_dim1_sp_op_CI_CI.kd
    .uniform_work_group_size: 1
    .uses_dynamic_stack: false
    .vgpr_count:     233
    .vgpr_spill_count: 0
    .wavefront_size: 64
amdhsa.target:   amdgcn-amd-amdhsa--gfx906
amdhsa.version:
  - 1
  - 2
...

	.end_amdgpu_metadata
